;; amdgpu-corpus repo=ROCm/rocFFT kind=compiled arch=gfx950 opt=O3
	.text
	.amdgcn_target "amdgcn-amd-amdhsa--gfx950"
	.amdhsa_code_object_version 6
	.protected	bluestein_single_back_len3750_dim1_dp_op_CI_CI ; -- Begin function bluestein_single_back_len3750_dim1_dp_op_CI_CI
	.globl	bluestein_single_back_len3750_dim1_dp_op_CI_CI
	.p2align	8
	.type	bluestein_single_back_len3750_dim1_dp_op_CI_CI,@function
bluestein_single_back_len3750_dim1_dp_op_CI_CI: ; @bluestein_single_back_len3750_dim1_dp_op_CI_CI
; %bb.0:
	s_load_dwordx4 s[12:15], s[0:1], 0x28
	v_mul_u32_u24_e32 v1, 0x20d, v0
	v_add_u32_sdwa v210, s2, v1 dst_sel:DWORD dst_unused:UNUSED_PAD src0_sel:DWORD src1_sel:WORD_1
	v_mov_b32_e32 v211, 0
	s_waitcnt lgkmcnt(0)
	v_cmp_gt_u64_e32 vcc, s[12:13], v[210:211]
	s_and_saveexec_b64 s[2:3], vcc
	s_cbranch_execz .LBB0_2
; %bb.1:
	s_load_dwordx4 s[4:7], s[0:1], 0x0
	s_load_dwordx4 s[8:11], s[0:1], 0x18
	s_load_dwordx2 s[2:3], s[0:1], 0x38
	s_movk_i32 s0, 0x7d
	v_mul_lo_u16_sdwa v1, v1, s0 dst_sel:DWORD dst_unused:UNUSED_PAD src0_sel:WORD_1 src1_sel:DWORD
	s_mov_b32 s0, 0
	v_mov_b32_e32 v177, s0
	s_waitcnt lgkmcnt(0)
	v_mov_b32_e32 v4, s2
	v_mov_b32_e32 v5, s3
	s_load_dwordx4 s[0:3], s[10:11], 0x0
	v_accvgpr_write_b32 a58, v5             ;  Reload Reuse
	v_accvgpr_write_b32 a59, v4             ;  Reload Reuse
	v_sub_u16_e32 v176, v0, v1
	v_mov_b32_e32 v2, s14
	s_waitcnt lgkmcnt(0)
	v_mad_u64_u32 v[4:5], s[10:11], s2, v210, 0
	s_load_dwordx4 s[8:11], s[8:9], 0x0
	v_mov_b32_e32 v0, v5
	v_mad_u64_u32 v[0:1], s[2:3], s3, v210, v[0:1]
	v_mov_b32_e32 v5, v0
	s_waitcnt lgkmcnt(0)
	v_mad_u64_u32 v[0:1], s[2:3], s10, v210, 0
	scratch_store_dwordx2 off, v[4:5], off offset:16 ; 8-byte Folded Spill
	v_mov_b32_e32 v4, v1
	v_mad_u64_u32 v[4:5], s[2:3], s11, v210, v[4:5]
	v_mov_b32_e32 v1, v4
	v_mad_u64_u32 v[4:5], s[2:3], s8, v176, 0
	v_mov_b32_e32 v6, v5
	v_mov_b32_e32 v3, s15
	v_mad_u64_u32 v[6:7], s[2:3], s9, v176, v[6:7]
	v_mov_b32_e32 v5, v6
	v_lshl_add_u64 v[0:1], v[0:1], 4, v[2:3]
	v_lshl_add_u64 v[8:9], v[4:5], 4, v[0:1]
	v_lshlrev_b32_e32 v210, 4, v176
	global_load_dwordx4 v[0:3], v[8:9], off
	global_load_dwordx4 v[10:13], v210, s[4:5]
	v_mov_b32_e32 v180, 0x4e20
	v_lshl_add_u64 v[174:175], s[4:5], 0, v[210:211]
	v_mov_b32_e32 v20, 0xffff6b90
                                        ; kill: killed $sgpr4_sgpr5
	s_movk_i32 s26, 0x2000
	s_mov_b32 s14, 0xe8584caa
	s_mov_b32 s15, 0x3febb67a
	;; [unrolled: 1-line block ×4, first 2 shown]
	v_add_u32_e32 v132, 0x2ee, v176
	v_add_u32_e32 v133, 0x36b, v176
	;; [unrolled: 1-line block ×4, first 2 shown]
	s_mov_b32 s13, 0xbfee6f0e
	s_movk_i32 s18, 0x89
	s_movk_i32 s19, 0xdb
	s_mov_b32 s21, 0xbfd3c6ef
	s_mov_b32 s22, 0x9b97f4a8
	s_mov_b32 s23, 0x3fe9e377
	s_movk_i32 s25, 0x4a
	s_movk_i32 s24, 0x2ee
	s_waitcnt vmcnt(0)
	scratch_store_dwordx4 off, v[10:13], off offset:24 ; 16-byte Folded Spill
	v_mul_f64 v[4:5], v[2:3], v[12:13]
	v_fmac_f64_e32 v[4:5], v[0:1], v[10:11]
	v_mul_f64 v[0:1], v[0:1], v[12:13]
	v_fma_f64 v[6:7], v[2:3], v[10:11], -v[0:1]
	v_mad_u64_u32 v[10:11], s[2:3], s8, v180, v[8:9]
	s_movk_i32 s3, 0x4000
	ds_write_b128 v210, v[4:7]
	s_mul_i32 s2, s9, 0x4e20
	v_add_co_u32_e32 v4, vcc, s3, v174
	v_add_u32_e32 v11, s2, v11
	s_nop 0
	v_addc_co_u32_e32 v5, vcc, 0, v175, vcc
	global_load_dwordx4 v[0:3], v[10:11], off
	global_load_dwordx4 v[12:15], v[4:5], off offset:3616
	s_mov_b32 s3, 0x9000
	s_waitcnt vmcnt(0)
	v_mul_f64 v[6:7], v[2:3], v[14:15]
	v_fmac_f64_e32 v[6:7], v[0:1], v[12:13]
	v_mul_f64 v[0:1], v[0:1], v[14:15]
	v_fma_f64 v[8:9], v[2:3], v[12:13], -v[0:1]
	scratch_store_dwordx4 off, v[12:15], off offset:40 ; 16-byte Folded Spill
	ds_write_b128 v210, v[6:9] offset:20000
	v_add_co_u32_e32 v6, vcc, s3, v174
	v_mad_u64_u32 v[12:13], s[10:11], s8, v180, v[10:11]
	v_add_u32_e32 v13, s2, v13
	v_addc_co_u32_e32 v7, vcc, 0, v175, vcc
	global_load_dwordx4 v[0:3], v[12:13], off
	global_load_dwordx4 v[14:17], v[6:7], off offset:3136
	s_mov_b64 s[10:11], 0x7d
	s_mul_i32 s3, s9, 0xffff6b90
	v_lshl_add_u64 v[194:195], v[176:177], 0, s[10:11]
	s_sub_i32 s3, s3, s8
	s_movk_i32 s9, 0x5000
	s_waitcnt vmcnt(0)
	v_mul_f64 v[8:9], v[2:3], v[16:17]
	v_fmac_f64_e32 v[8:9], v[0:1], v[14:15]
	v_mul_f64 v[0:1], v[0:1], v[16:17]
	v_fma_f64 v[10:11], v[2:3], v[14:15], -v[0:1]
	v_mov_b32_e32 v0, 0xffff6b90
	v_mad_u64_u32 v[12:13], s[10:11], s8, v0, v[12:13]
	scratch_store_dwordx4 off, v[14:17], off offset:56 ; 16-byte Folded Spill
	ds_write_b128 v210, v[8:11] offset:40000
	v_add_u32_e32 v13, s3, v13
	global_load_dwordx4 v[0:3], v[12:13], off
	global_load_dwordx4 v[14:17], v210, s[4:5] offset:2000
	v_mad_u64_u32 v[12:13], s[10:11], s8, v180, v[12:13]
	v_add_u32_e32 v13, s2, v13
	s_waitcnt vmcnt(0)
	v_mul_f64 v[8:9], v[2:3], v[16:17]
	v_fmac_f64_e32 v[8:9], v[0:1], v[14:15]
	v_mul_f64 v[0:1], v[0:1], v[16:17]
	scratch_store_dwordx4 off, v[14:17], off offset:72 ; 16-byte Folded Spill
	v_fma_f64 v[10:11], v[2:3], v[14:15], -v[0:1]
	global_load_dwordx4 v[0:3], v[12:13], off
	v_add_co_u32_e32 v14, vcc, s9, v174
	ds_write_b128 v210, v[8:11] offset:2000
	s_nop 0
	v_addc_co_u32_e32 v15, vcc, 0, v175, vcc
	global_load_dwordx4 v[16:19], v[14:15], off offset:1520
	s_mov_b32 s9, 0xa000
	v_mad_u64_u32 v[12:13], s[10:11], s8, v180, v[12:13]
	v_add_u32_e32 v13, s2, v13
	s_mov_b64 s[10:11], 0xfa
	v_lshl_add_u64 v[198:199], v[176:177], 0, s[10:11]
                                        ; kill: killed $vgpr14 killed $vgpr15
	s_waitcnt vmcnt(0)
	v_mul_f64 v[8:9], v[2:3], v[18:19]
	v_fmac_f64_e32 v[8:9], v[0:1], v[16:17]
	v_mul_f64 v[0:1], v[0:1], v[18:19]
	scratch_store_dwordx4 off, v[16:19], off offset:88 ; 16-byte Folded Spill
	v_fma_f64 v[10:11], v[2:3], v[16:17], -v[0:1]
	global_load_dwordx4 v[0:3], v[12:13], off
	v_add_co_u32_e32 v16, vcc, s9, v174
	ds_write_b128 v210, v[8:11] offset:22000
	s_nop 0
	v_addc_co_u32_e32 v17, vcc, 0, v175, vcc
	global_load_dwordx4 v[22:25], v[16:17], off offset:1040
	v_mad_u64_u32 v[12:13], s[10:11], s8, v20, v[12:13]
	v_add_u32_e32 v13, s3, v13
                                        ; kill: killed $vgpr16 killed $vgpr17
	s_mov_b32 s11, 0xbfe2cf23
	s_waitcnt vmcnt(0)
	v_mul_f64 v[8:9], v[2:3], v[24:25]
	v_fmac_f64_e32 v[8:9], v[0:1], v[22:23]
	v_mul_f64 v[0:1], v[0:1], v[24:25]
	v_fma_f64 v[10:11], v[2:3], v[22:23], -v[0:1]
	scratch_store_dwordx4 off, v[22:25], off offset:104 ; 16-byte Folded Spill
	ds_write_b128 v210, v[8:11] offset:42000
	global_load_dwordx4 v[0:3], v[12:13], off
	global_load_dwordx4 v[22:25], v210, s[4:5] offset:4000
	v_mad_u64_u32 v[12:13], s[4:5], s8, v180, v[12:13]
	v_add_u32_e32 v13, s2, v13
	s_waitcnt vmcnt(0)
	v_mul_f64 v[8:9], v[2:3], v[24:25]
	v_fmac_f64_e32 v[8:9], v[0:1], v[22:23]
	v_mul_f64 v[0:1], v[0:1], v[24:25]
	v_fma_f64 v[10:11], v[2:3], v[22:23], -v[0:1]
	scratch_store_dwordx4 off, v[22:25], off offset:120 ; 16-byte Folded Spill
	ds_write_b128 v210, v[8:11] offset:4000
	global_load_dwordx4 v[0:3], v[12:13], off
	global_load_dwordx4 v[22:25], v[14:15], off offset:3520
	v_mad_u64_u32 v[12:13], s[4:5], s8, v180, v[12:13]
	v_add_u32_e32 v13, s2, v13
	s_mov_b64 s[4:5], 0x177
	v_lshl_add_u64 v[200:201], v[176:177], 0, s[4:5]
	s_waitcnt vmcnt(0)
	v_mul_f64 v[8:9], v[2:3], v[24:25]
	v_fmac_f64_e32 v[8:9], v[0:1], v[22:23]
	v_mul_f64 v[0:1], v[0:1], v[24:25]
	v_fma_f64 v[10:11], v[2:3], v[22:23], -v[0:1]
	scratch_store_dwordx4 off, v[22:25], off offset:136 ; 16-byte Folded Spill
	ds_write_b128 v210, v[8:11] offset:24000
	global_load_dwordx4 v[0:3], v[12:13], off
	global_load_dwordx4 v[22:25], v[16:17], off offset:3040
	v_mad_u64_u32 v[12:13], s[4:5], s8, v20, v[12:13]
	s_movk_i32 s4, 0x1000
	s_nop 0
	v_add_co_u32_e32 v14, vcc, s4, v174
	v_add_u32_e32 v13, s3, v13
	s_nop 0
	v_addc_co_u32_e32 v15, vcc, 0, v175, vcc
	global_load_dwordx4 v[16:19], v[14:15], off offset:1904
                                        ; kill: killed $vgpr14 killed $vgpr15
	s_waitcnt vmcnt(1)
	v_mul_f64 v[8:9], v[2:3], v[24:25]
	v_fmac_f64_e32 v[8:9], v[0:1], v[22:23]
	v_mul_f64 v[0:1], v[0:1], v[24:25]
	v_fma_f64 v[10:11], v[2:3], v[22:23], -v[0:1]
	global_load_dwordx4 v[0:3], v[12:13], off
	ds_write_b128 v210, v[8:11] offset:44000
	v_mad_u64_u32 v[12:13], s[4:5], s8, v180, v[12:13]
	s_movk_i32 s4, 0x6000
	s_waitcnt vmcnt(1)
	scratch_store_dwordx4 off, v[16:19], off offset:184 ; 16-byte Folded Spill
	v_add_u32_e32 v13, s2, v13
	scratch_store_dwordx4 off, v[22:25], off offset:168 ; 16-byte Folded Spill
	s_waitcnt vmcnt(2)
	v_mul_f64 v[8:9], v[2:3], v[18:19]
	v_fmac_f64_e32 v[8:9], v[0:1], v[16:17]
	v_mul_f64 v[0:1], v[0:1], v[18:19]
	v_fma_f64 v[10:11], v[2:3], v[16:17], -v[0:1]
	v_add_co_u32_e32 v16, vcc, s4, v174
	global_load_dwordx4 v[0:3], v[12:13], off
	s_nop 0
	v_addc_co_u32_e32 v17, vcc, 0, v175, vcc
	global_load_dwordx4 v[22:25], v[16:17], off offset:1424
	v_mad_u64_u32 v[12:13], s[4:5], s8, v180, v[12:13]
	s_mov_b32 s4, 0xb000
	ds_write_b128 v210, v[8:11] offset:6000
	v_add_co_u32_e32 v18, vcc, s4, v174
	v_add_u32_e32 v13, s2, v13
	s_nop 0
	v_addc_co_u32_e32 v19, vcc, 0, v175, vcc
	s_mov_b64 s[4:5], 0x1f4
	v_lshl_add_u64 v[220:221], v[176:177], 0, s[4:5]
                                        ; kill: killed $vgpr18 killed $vgpr19
	s_waitcnt vmcnt(0)
	v_mul_f64 v[8:9], v[2:3], v[24:25]
	v_fmac_f64_e32 v[8:9], v[0:1], v[22:23]
	v_mul_f64 v[0:1], v[0:1], v[24:25]
	scratch_store_dwordx4 off, v[22:25], off offset:200 ; 16-byte Folded Spill
	v_fma_f64 v[10:11], v[2:3], v[22:23], -v[0:1]
	global_load_dwordx4 v[0:3], v[12:13], off
	global_load_dwordx4 v[22:25], v[18:19], off offset:944
	ds_write_b128 v210, v[8:11] offset:26000
	v_mad_u64_u32 v[12:13], s[4:5], s8, v20, v[12:13]
	v_add_u32_e32 v13, s3, v13
	s_waitcnt vmcnt(0)
	v_mul_f64 v[8:9], v[2:3], v[24:25]
	v_fmac_f64_e32 v[8:9], v[0:1], v[22:23]
	v_mul_f64 v[0:1], v[0:1], v[24:25]
	v_fma_f64 v[10:11], v[2:3], v[22:23], -v[0:1]
	scratch_store_dwordx4 off, v[22:25], off offset:216 ; 16-byte Folded Spill
	ds_write_b128 v210, v[8:11] offset:46000
	global_load_dwordx4 v[0:3], v[12:13], off
	global_load_dwordx4 v[22:25], v[14:15], off offset:3904
	v_mad_u64_u32 v[12:13], s[4:5], s8, v180, v[12:13]
	v_add_u32_e32 v13, s2, v13
	s_waitcnt vmcnt(0)
	v_mul_f64 v[8:9], v[2:3], v[24:25]
	v_fmac_f64_e32 v[8:9], v[0:1], v[22:23]
	v_mul_f64 v[0:1], v[0:1], v[24:25]
	v_fma_f64 v[10:11], v[2:3], v[22:23], -v[0:1]
	scratch_store_dwordx4 off, v[22:25], off offset:232 ; 16-byte Folded Spill
	ds_write_b128 v210, v[8:11] offset:8000
	global_load_dwordx4 v[0:3], v[12:13], off
	global_load_dwordx4 v[8:11], v[16:17], off offset:3424
	v_mad_u64_u32 v[12:13], s[4:5], s8, v180, v[12:13]
	v_add_u32_e32 v13, s2, v13
	s_mov_b64 s[4:5], 0x271
	v_lshl_add_u64 v[218:219], v[176:177], 0, s[4:5]
	s_waitcnt vmcnt(0)
	v_mov_b64_e32 v[16:17], v[10:11]
	v_mov_b64_e32 v[14:15], v[8:9]
	v_mul_f64 v[8:9], v[2:3], v[16:17]
	v_fmac_f64_e32 v[8:9], v[0:1], v[14:15]
	v_mul_f64 v[0:1], v[0:1], v[16:17]
	v_fma_f64 v[10:11], v[2:3], v[14:15], -v[0:1]
	scratch_store_dwordx4 off, v[14:17], off offset:268 ; 16-byte Folded Spill
	ds_write_b128 v210, v[8:11] offset:28000
	global_load_dwordx4 v[0:3], v[12:13], off
	global_load_dwordx4 v[14:17], v[18:19], off offset:2944
	v_mad_u64_u32 v[12:13], s[4:5], s8, v20, v[12:13]
	v_add_u32_e32 v13, s3, v13
	s_waitcnt vmcnt(0)
	v_mul_f64 v[8:9], v[2:3], v[16:17]
	v_fmac_f64_e32 v[8:9], v[0:1], v[14:15]
	v_mul_f64 v[0:1], v[0:1], v[16:17]
	scratch_store_dwordx4 off, v[14:17], off offset:248 ; 16-byte Folded Spill
	v_fma_f64 v[10:11], v[2:3], v[14:15], -v[0:1]
	global_load_dwordx4 v[0:3], v[12:13], off
	v_add_co_u32_e32 v14, vcc, s26, v174
	ds_write_b128 v210, v[8:11] offset:48000
	s_nop 0
	v_addc_co_u32_e32 v15, vcc, 0, v175, vcc
	global_load_dwordx4 v[16:19], v[14:15], off offset:1808
	v_mad_u64_u32 v[12:13], s[4:5], s8, v180, v[12:13]
	s_movk_i32 s4, 0x7000
	v_add_u32_e32 v13, s2, v13
                                        ; kill: killed $vgpr14 killed $vgpr15
	s_waitcnt vmcnt(0)
	v_mul_f64 v[8:9], v[2:3], v[18:19]
	v_fmac_f64_e32 v[8:9], v[0:1], v[16:17]
	v_mul_f64 v[0:1], v[0:1], v[18:19]
	scratch_store_dwordx4 off, v[16:19], off offset:284 ; 16-byte Folded Spill
	v_fma_f64 v[10:11], v[2:3], v[16:17], -v[0:1]
	global_load_dwordx4 v[0:3], v[12:13], off
	v_add_co_u32_e32 v16, vcc, s4, v174
	v_mad_u64_u32 v[12:13], s[4:5], s8, v180, v[12:13]
	s_nop 0
	v_addc_co_u32_e32 v17, vcc, 0, v175, vcc
	global_load_dwordx4 v[22:25], v[16:17], off offset:1328
	s_mov_b32 s4, 0xc000
	ds_write_b128 v210, v[8:11] offset:10000
	v_add_co_u32_e32 v18, vcc, s4, v174
	v_add_u32_e32 v13, s2, v13
	s_nop 0
	v_addc_co_u32_e32 v19, vcc, 0, v175, vcc
                                        ; kill: killed $vgpr16 killed $vgpr17
                                        ; kill: killed $vgpr18 killed $vgpr19
	s_waitcnt vmcnt(0)
	v_mul_f64 v[8:9], v[2:3], v[24:25]
	v_fmac_f64_e32 v[8:9], v[0:1], v[22:23]
	v_mul_f64 v[0:1], v[0:1], v[24:25]
	scratch_store_dwordx4 off, v[22:25], off offset:304 ; 16-byte Folded Spill
	v_fma_f64 v[10:11], v[2:3], v[22:23], -v[0:1]
	global_load_dwordx4 v[0:3], v[12:13], off
	global_load_dwordx4 v[22:25], v[18:19], off offset:848
	ds_write_b128 v210, v[8:11] offset:30000
	v_mad_u64_u32 v[12:13], s[4:5], s8, v20, v[12:13]
	v_add_u32_e32 v13, s3, v13
	s_waitcnt vmcnt(0)
	v_mul_f64 v[8:9], v[2:3], v[24:25]
	v_fmac_f64_e32 v[8:9], v[0:1], v[22:23]
	v_mul_f64 v[0:1], v[0:1], v[24:25]
	v_fma_f64 v[10:11], v[2:3], v[22:23], -v[0:1]
	scratch_store_dwordx4 off, v[22:25], off offset:320 ; 16-byte Folded Spill
	ds_write_b128 v210, v[8:11] offset:50000
	global_load_dwordx4 v[0:3], v[12:13], off
	global_load_dwordx4 v[22:25], v[14:15], off offset:3808
	v_mad_u64_u32 v[12:13], s[4:5], s8, v180, v[12:13]
	v_add_u32_e32 v13, s2, v13
	s_waitcnt vmcnt(0)
	v_mul_f64 v[8:9], v[2:3], v[24:25]
	v_fmac_f64_e32 v[8:9], v[0:1], v[22:23]
	v_mul_f64 v[0:1], v[0:1], v[24:25]
	v_fma_f64 v[10:11], v[2:3], v[22:23], -v[0:1]
	scratch_store_dwordx4 off, v[22:25], off offset:384 ; 16-byte Folded Spill
	ds_write_b128 v210, v[8:11] offset:12000
	global_load_dwordx4 v[0:3], v[12:13], off
	global_load_dwordx4 v[22:25], v[16:17], off offset:3328
	;; [unrolled: 11-line block ×3, first 2 shown]
	v_mad_u64_u32 v[12:13], s[4:5], s8, v20, v[12:13]
	s_movk_i32 s4, 0x3000
	v_add_u32_e32 v13, s3, v13
	s_waitcnt vmcnt(0)
	v_mul_f64 v[8:9], v[2:3], v[16:17]
	v_fmac_f64_e32 v[8:9], v[0:1], v[14:15]
	v_mul_f64 v[0:1], v[0:1], v[16:17]
	scratch_store_dwordx4 off, v[14:17], off offset:336 ; 16-byte Folded Spill
	v_fma_f64 v[10:11], v[2:3], v[14:15], -v[0:1]
	global_load_dwordx4 v[0:3], v[12:13], off
	v_add_co_u32_e32 v14, vcc, s4, v174
	ds_write_b128 v210, v[8:11] offset:52000
	s_nop 0
	v_addc_co_u32_e32 v15, vcc, 0, v175, vcc
	global_load_dwordx4 v[16:19], v[14:15], off offset:1712
	v_mad_u64_u32 v[12:13], s[4:5], s8, v180, v[12:13]
	s_mov_b32 s4, 0x8000
	v_add_u32_e32 v13, s2, v13
	s_waitcnt vmcnt(0)
	v_mul_f64 v[8:9], v[2:3], v[18:19]
	v_fmac_f64_e32 v[8:9], v[0:1], v[16:17]
	v_mul_f64 v[0:1], v[0:1], v[18:19]
	scratch_store_dwordx4 off, v[16:19], off offset:416 ; 16-byte Folded Spill
	v_fma_f64 v[10:11], v[2:3], v[16:17], -v[0:1]
	global_load_dwordx4 v[0:3], v[12:13], off
	v_add_co_u32_e32 v16, vcc, s4, v174
	v_mad_u64_u32 v[12:13], s[4:5], s8, v180, v[12:13]
	s_nop 0
	v_addc_co_u32_e32 v17, vcc, 0, v175, vcc
	global_load_dwordx4 v[22:25], v[16:17], off offset:1232
	s_mov_b32 s4, 0xd000
	ds_write_b128 v210, v[8:11] offset:14000
	v_add_co_u32_e32 v18, vcc, s4, v174
	v_add_u32_e32 v13, s2, v13
	s_nop 0
	v_addc_co_u32_e32 v19, vcc, 0, v175, vcc
	s_waitcnt vmcnt(0)
	v_mul_f64 v[8:9], v[2:3], v[24:25]
	v_fmac_f64_e32 v[8:9], v[0:1], v[22:23]
	v_mul_f64 v[0:1], v[0:1], v[24:25]
	scratch_store_dwordx4 off, v[22:25], off offset:432 ; 16-byte Folded Spill
	v_fma_f64 v[10:11], v[2:3], v[22:23], -v[0:1]
	global_load_dwordx4 v[0:3], v[12:13], off
	global_load_dwordx4 v[22:25], v[18:19], off offset:752
	ds_write_b128 v210, v[8:11] offset:34000
	v_mad_u64_u32 v[12:13], s[4:5], s8, v20, v[12:13]
	v_add_u32_e32 v13, s3, v13
	s_waitcnt vmcnt(0)
	v_mul_f64 v[8:9], v[2:3], v[24:25]
	v_fmac_f64_e32 v[8:9], v[0:1], v[22:23]
	v_mul_f64 v[0:1], v[0:1], v[24:25]
	v_fma_f64 v[10:11], v[2:3], v[22:23], -v[0:1]
	scratch_store_dwordx4 off, v[22:25], off offset:464 ; 16-byte Folded Spill
	ds_write_b128 v210, v[8:11] offset:54000
	global_load_dwordx4 v[0:3], v[12:13], off
	global_load_dwordx4 v[22:25], v[14:15], off offset:3712
	v_mad_u64_u32 v[12:13], s[4:5], s8, v180, v[12:13]
	v_add_u32_e32 v13, s2, v13
	s_waitcnt vmcnt(0)
	v_mul_f64 v[8:9], v[2:3], v[24:25]
	v_fmac_f64_e32 v[8:9], v[0:1], v[22:23]
	v_mul_f64 v[0:1], v[0:1], v[24:25]
	v_fma_f64 v[10:11], v[2:3], v[22:23], -v[0:1]
	scratch_store_dwordx4 off, v[22:25], off offset:448 ; 16-byte Folded Spill
	ds_write_b128 v210, v[8:11] offset:16000
	global_load_dwordx4 v[0:3], v[12:13], off
	s_nop 0
	global_load_dwordx4 v[14:17], v[16:17], off offset:3232
	v_mad_u64_u32 v[12:13], s[4:5], s8, v180, v[12:13]
	v_add_u32_e32 v13, s2, v13
	s_waitcnt vmcnt(0)
	v_mul_f64 v[8:9], v[2:3], v[16:17]
	v_fmac_f64_e32 v[8:9], v[0:1], v[14:15]
	v_mul_f64 v[0:1], v[0:1], v[16:17]
	v_fma_f64 v[10:11], v[2:3], v[14:15], -v[0:1]
	scratch_store_dwordx4 off, v[14:17], off offset:400 ; 16-byte Folded Spill
	ds_write_b128 v210, v[8:11] offset:36000
	global_load_dwordx4 v[0:3], v[12:13], off
	global_load_dwordx4 v[14:17], v[18:19], off offset:2752
	s_waitcnt vmcnt(0)
	v_mul_f64 v[8:9], v[2:3], v[16:17]
	v_fmac_f64_e32 v[8:9], v[0:1], v[14:15]
	v_mul_f64 v[0:1], v[0:1], v[16:17]
	v_fma_f64 v[10:11], v[2:3], v[14:15], -v[0:1]
	ds_write_b128 v210, v[8:11] offset:56000
	v_mad_u64_u32 v[8:9], s[4:5], s8, v20, v[12:13]
	scratch_store_dwordx4 off, v[14:17], off offset:352 ; 16-byte Folded Spill
	v_add_u32_e32 v9, s3, v9
	global_load_dwordx4 v[0:3], v[8:9], off
	global_load_dwordx4 v[12:15], v[4:5], off offset:1616
	v_mad_u64_u32 v[8:9], s[4:5], s8, v180, v[8:9]
	v_add_u32_e32 v9, s2, v9
	s_waitcnt vmcnt(0)
	v_mul_f64 v[10:11], v[2:3], v[14:15]
	v_fmac_f64_e32 v[10:11], v[0:1], v[12:13]
	v_mul_f64 v[0:1], v[0:1], v[14:15]
	scratch_store_dwordx4 off, v[12:15], off offset:480 ; 16-byte Folded Spill
	s_nop 1
	v_fma_f64 v[12:13], v[2:3], v[12:13], -v[0:1]
	ds_write_b128 v210, v[10:13] offset:18000
	global_load_dwordx4 v[0:3], v[8:9], off
	global_load_dwordx4 v[10:13], v[6:7], off offset:1136
	s_waitcnt vmcnt(0)
	v_mul_f64 v[4:5], v[2:3], v[12:13]
	v_fmac_f64_e32 v[4:5], v[0:1], v[10:11]
	v_mul_f64 v[0:1], v[0:1], v[12:13]
	v_fma_f64 v[6:7], v[2:3], v[10:11], -v[0:1]
	v_mad_u64_u32 v[0:1], s[4:5], s8, v180, v[8:9]
	v_add_u32_e32 v1, s2, v1
	s_mov_b32 s2, 0xe000
	v_add_co_u32_e32 v8, vcc, s2, v174
	ds_write_b128 v210, v[4:7] offset:38000
	s_nop 0
	v_addc_co_u32_e32 v9, vcc, 0, v175, vcc
	global_load_dwordx4 v[4:7], v[8:9], off offset:656
	v_accvgpr_write_b32 a57, v9
	global_load_dwordx4 v[0:3], v[0:1], off
	v_accvgpr_write_b32 a56, v8
	scratch_store_dwordx4 off, v[10:13], off offset:496 ; 16-byte Folded Spill
	s_movk_i32 s2, 0xab
	s_mov_b32 s8, 0x4755a5e
	s_mov_b32 s9, 0x3fe2cf23
	;; [unrolled: 1-line block ×6, first 2 shown]
	s_waitcnt vmcnt(2)
	v_mov_b64_e32 v[8:9], v[6:7]
	v_mov_b64_e32 v[6:7], v[4:5]
	s_waitcnt vmcnt(1)
	v_mul_f64 v[4:5], v[2:3], v[8:9]
	v_fmac_f64_e32 v[4:5], v[0:1], v[6:7]
	v_mul_f64 v[0:1], v[0:1], v[8:9]
	scratch_store_dwordx4 off, v[6:9], off offset:152 ; 16-byte Folded Spill
	s_nop 1
	v_fma_f64 v[6:7], v[2:3], v[6:7], -v[0:1]
	ds_write_b128 v210, v[4:7] offset:58000
	s_waitcnt lgkmcnt(0)
	s_barrier
	ds_read_b128 v[36:39], v210
	ds_read_b128 v[66:69], v210 offset:20000
	ds_read_b128 v[84:87], v210 offset:40000
	;; [unrolled: 1-line block ×29, first 2 shown]
	s_waitcnt lgkmcnt(14)
	v_add_f64 v[60:61], v[36:37], v[66:67]
	v_add_f64 v[100:101], v[60:61], v[84:85]
	v_add_f64 v[60:61], v[66:67], v[84:85]
	v_fmac_f64_e32 v[36:37], -0.5, v[60:61]
	v_add_f64 v[60:61], v[68:69], -v[86:87]
	v_fma_f64 v[96:97], s[14:15], v[60:61], v[36:37]
	v_fmac_f64_e32 v[36:37], s[16:17], v[60:61]
	v_add_f64 v[60:61], v[38:39], v[68:69]
	v_add_f64 v[102:103], v[60:61], v[86:87]
	v_add_f64 v[60:61], v[68:69], v[86:87]
	v_fmac_f64_e32 v[38:39], -0.5, v[60:61]
	v_add_f64 v[60:61], v[66:67], -v[84:85]
	v_fma_f64 v[98:99], s[16:17], v[60:61], v[38:39]
	v_fmac_f64_e32 v[38:39], s[14:15], v[60:61]
	;; [unrolled: 7-line block ×3, first 2 shown]
	v_add_f64 v[60:61], v[6:7], v[42:43]
	v_add_f64 v[42:43], v[42:43], v[54:55]
	v_fmac_f64_e32 v[6:7], -0.5, v[42:43]
	v_add_f64 v[40:41], v[40:41], -v[52:53]
	v_fma_f64 v[70:71], s[16:17], v[40:41], v[6:7]
	v_fmac_f64_e32 v[6:7], s[14:15], v[40:41]
	v_add_f64 v[40:41], v[0:1], v[56:57]
	v_add_f64 v[52:53], v[40:41], v[128:129]
	;; [unrolled: 1-line block ×3, first 2 shown]
	v_fmac_f64_e32 v[0:1], -0.5, v[40:41]
	v_add_f64 v[42:43], v[58:59], -v[130:131]
	v_fma_f64 v[40:41], s[14:15], v[42:43], v[0:1]
	v_fmac_f64_e32 v[0:1], s[16:17], v[42:43]
	v_add_f64 v[42:43], v[2:3], v[58:59]
	v_add_f64 v[86:87], v[60:61], v[54:55]
	;; [unrolled: 1-line block ×4, first 2 shown]
	v_fmac_f64_e32 v[2:3], -0.5, v[42:43]
	v_add_f64 v[56:57], v[56:57], -v[128:129]
	v_add_f64 v[58:59], v[62:63], v[72:73]
	v_fma_f64 v[42:43], s[16:17], v[56:57], v[2:3]
	v_fmac_f64_e32 v[2:3], s[14:15], v[56:57]
	v_add_f64 v[56:57], v[8:9], v[62:63]
	v_fmac_f64_e32 v[8:9], -0.5, v[58:59]
	v_add_f64 v[58:59], v[64:65], -v[74:75]
	v_fma_f64 v[60:61], s[14:15], v[58:59], v[8:9]
	v_fmac_f64_e32 v[8:9], s[16:17], v[58:59]
	v_add_f64 v[58:59], v[10:11], v[64:65]
	v_add_f64 v[64:65], v[64:65], v[74:75]
	v_fmac_f64_e32 v[10:11], -0.5, v[64:65]
	v_add_f64 v[64:65], v[62:63], -v[72:73]
	v_add_f64 v[66:67], v[88:89], v[92:93]
	v_add_f64 v[58:59], v[58:59], v[74:75]
	v_fma_f64 v[62:63], s[16:17], v[64:65], v[10:11]
	v_fmac_f64_e32 v[10:11], s[14:15], v[64:65]
	v_add_f64 v[64:65], v[16:17], v[88:89]
	v_fmac_f64_e32 v[16:17], -0.5, v[66:67]
	v_add_f64 v[66:67], v[90:91], -v[94:95]
	v_add_f64 v[74:75], v[90:91], v[94:95]
	v_add_f64 v[56:57], v[56:57], v[72:73]
	v_fma_f64 v[72:73], s[14:15], v[66:67], v[16:17]
	v_fmac_f64_e32 v[16:17], s[16:17], v[66:67]
	v_add_f64 v[66:67], v[18:19], v[90:91]
	v_fmac_f64_e32 v[18:19], -0.5, v[74:75]
	v_add_f64 v[88:89], v[88:89], -v[92:93]
	v_fma_f64 v[74:75], s[16:17], v[88:89], v[18:19]
	v_fmac_f64_e32 v[18:19], s[14:15], v[88:89]
	s_waitcnt lgkmcnt(13)
	v_add_f64 v[88:89], v[24:25], v[104:105]
	v_add_f64 v[64:65], v[64:65], v[92:93]
	s_waitcnt lgkmcnt(12)
	v_add_f64 v[92:93], v[88:89], v[112:113]
	v_add_f64 v[88:89], v[104:105], v[112:113]
	v_fmac_f64_e32 v[24:25], -0.5, v[88:89]
	v_add_f64 v[90:91], v[106:107], -v[114:115]
	v_fma_f64 v[88:89], s[14:15], v[90:91], v[24:25]
	v_fmac_f64_e32 v[24:25], s[16:17], v[90:91]
	v_add_f64 v[90:91], v[26:27], v[106:107]
	v_add_f64 v[66:67], v[66:67], v[94:95]
	;; [unrolled: 1-line block ×4, first 2 shown]
	v_fmac_f64_e32 v[26:27], -0.5, v[90:91]
	v_add_f64 v[104:105], v[104:105], -v[112:113]
	v_fma_f64 v[90:91], s[16:17], v[104:105], v[26:27]
	v_fmac_f64_e32 v[26:27], s[14:15], v[104:105]
	s_waitcnt lgkmcnt(10)
	v_add_f64 v[104:105], v[32:33], v[120:121]
	s_waitcnt lgkmcnt(9)
	v_add_f64 v[112:113], v[104:105], v[124:125]
	v_add_f64 v[104:105], v[120:121], v[124:125]
	v_fmac_f64_e32 v[32:33], -0.5, v[104:105]
	v_add_f64 v[106:107], v[122:123], -v[126:127]
	v_fma_f64 v[104:105], s[14:15], v[106:107], v[32:33]
	v_fmac_f64_e32 v[32:33], s[16:17], v[106:107]
	v_add_f64 v[106:107], v[34:35], v[122:123]
	v_add_f64 v[114:115], v[106:107], v[126:127]
	;; [unrolled: 1-line block ×3, first 2 shown]
	v_fmac_f64_e32 v[34:35], -0.5, v[106:107]
	v_add_f64 v[120:121], v[120:121], -v[124:125]
	v_fma_f64 v[106:107], s[16:17], v[120:121], v[34:35]
	v_fmac_f64_e32 v[34:35], s[14:15], v[120:121]
	s_waitcnt lgkmcnt(7)
	v_add_f64 v[120:121], v[28:29], v[108:109]
	s_waitcnt lgkmcnt(6)
	v_add_f64 v[124:125], v[120:121], v[116:117]
	v_add_f64 v[120:121], v[108:109], v[116:117]
	v_fmac_f64_e32 v[28:29], -0.5, v[120:121]
	v_add_f64 v[122:123], v[110:111], -v[118:119]
	v_fma_f64 v[120:121], s[14:15], v[122:123], v[28:29]
	v_fmac_f64_e32 v[28:29], s[16:17], v[122:123]
	v_add_f64 v[122:123], v[30:31], v[110:111]
	v_add_f64 v[110:111], v[110:111], v[118:119]
	v_fmac_f64_e32 v[30:31], -0.5, v[110:111]
	v_add_f64 v[108:109], v[108:109], -v[116:117]
	v_add_f64 v[126:127], v[122:123], v[118:119]
	v_fma_f64 v[122:123], s[16:17], v[108:109], v[30:31]
	v_fmac_f64_e32 v[30:31], s[14:15], v[108:109]
	s_waitcnt lgkmcnt(4)
	v_add_f64 v[108:109], v[20:21], v[76:77]
	s_waitcnt lgkmcnt(3)
	v_add_f64 v[116:117], v[108:109], v[80:81]
	v_add_f64 v[108:109], v[76:77], v[80:81]
	v_fmac_f64_e32 v[20:21], -0.5, v[108:109]
	v_add_f64 v[110:111], v[78:79], -v[82:83]
	v_fma_f64 v[108:109], s[14:15], v[110:111], v[20:21]
	v_fmac_f64_e32 v[20:21], s[16:17], v[110:111]
	v_add_f64 v[110:111], v[22:23], v[78:79]
	v_add_f64 v[78:79], v[78:79], v[82:83]
	v_fmac_f64_e32 v[22:23], -0.5, v[78:79]
	v_add_f64 v[76:77], v[76:77], -v[80:81]
	v_add_f64 v[118:119], v[110:111], v[82:83]
	;; [unrolled: 16-line block ×3, first 2 shown]
	v_fma_f64 v[78:79], s[16:17], v[44:45], v[14:15]
	v_fmac_f64_e32 v[14:15], s[14:15], v[44:45]
	v_mul_lo_u16_e32 v44, 3, v176
	v_lshlrev_b32_e32 v236, 4, v44
	s_barrier
	ds_write_b128 v236, v[100:103]
	ds_write_b128 v236, v[96:99] offset:16
	ds_write_b128 v236, v[36:39] offset:32
	v_mul_u32_u24_e32 v36, 3, v194
	v_lshlrev_b32_e32 v212, 4, v36
	ds_write_b128 v212, v[84:87]
	ds_write_b128 v212, v[68:71] offset:16
	ds_write_b128 v212, v[4:7] offset:32
	v_mul_u32_u24_e32 v4, 3, v198
	v_lshlrev_b32_e32 v245, 4, v4
	ds_write_b128 v245, v[52:55]
	ds_write_b128 v245, v[40:43] offset:16
	ds_write_b128 v245, v[0:3] offset:32
	v_mul_u32_u24_e32 v0, 3, v200
	v_lshlrev_b32_e32 v244, 4, v0
	v_mul_u32_u24_e32 v0, 3, v220
	v_lshlrev_b32_e32 v237, 4, v0
	v_mul_u32_u24_e32 v0, 3, v218
	v_lshlrev_b32_e32 v217, 4, v0
	;; [unrolled: 2-line block ×4, first 2 shown]
	ds_write_b128 v244, v[56:59]
	ds_write_b128 v244, v[60:63] offset:16
	ds_write_b128 v244, v[8:11] offset:32
	ds_write_b128 v237, v[64:67]
	ds_write_b128 v237, v[72:75] offset:16
	ds_write_b128 v237, v[16:19] offset:32
	;; [unrolled: 3-line block ×5, first 2 shown]
	v_mul_lo_u16_sdwa v120, v176, s2 dst_sel:DWORD dst_unused:UNUSED_PAD src0_sel:BYTE_0 src1_sel:DWORD
	v_lshrrev_b16_e32 v205, 9, v120
	v_mul_lo_u16_e32 v120, 3, v205
	v_mul_u32_u24_e32 v0, 3, v134
	v_sub_u16_e32 v120, v176, v120
	v_lshlrev_b32_e32 v214, 4, v0
	v_mul_u32_u24_e32 v0, 3, v135
	v_and_b32_e32 v206, 0xff, v120
	v_lshlrev_b32_e32 v213, 4, v0
	v_lshlrev_b32_e32 v120, 6, v206
	ds_write_b128 v214, v[116:119]
	ds_write_b128 v214, v[108:111] offset:16
	ds_write_b128 v214, v[20:23] offset:32
	ds_write_b128 v213, v[80:83]
	ds_write_b128 v213, v[76:79] offset:16
	ds_write_b128 v213, v[12:15] offset:32
	s_waitcnt lgkmcnt(0)
	s_barrier
	ds_read_b128 v[20:23], v210
	ds_read_b128 v[116:119], v210 offset:12000
	ds_read_b128 v[112:115], v210 offset:24000
	;; [unrolled: 1-line block ×29, first 2 shown]
	global_load_dwordx4 v[246:249], v120, s[6:7] offset:48
	global_load_dwordx4 v[250:253], v120, s[6:7] offset:32
	;; [unrolled: 1-line block ×3, first 2 shown]
	global_load_dwordx4 v[126:129], v120, s[6:7]
	s_waitcnt vmcnt(0) lgkmcnt(14)
	v_mul_f64 v[120:121], v[118:119], v[128:129]
	v_fma_f64 v[120:121], v[116:117], v[126:127], -v[120:121]
	v_mul_f64 v[116:117], v[116:117], v[128:129]
	v_fmac_f64_e32 v[116:117], v[118:119], v[126:127]
	v_mul_f64 v[118:119], v[114:115], v[234:235]
	v_fma_f64 v[122:123], v[112:113], v[232:233], -v[118:119]
	v_mul_f64 v[118:119], v[112:113], v[234:235]
	v_mul_f64 v[112:113], v[110:111], v[252:253]
	v_fma_f64 v[124:125], v[108:109], v[250:251], -v[112:113]
	v_mul_f64 v[108:109], v[108:109], v[252:253]
	v_fmac_f64_e32 v[108:109], v[110:111], v[250:251]
	v_mul_f64 v[110:111], v[106:107], v[248:249]
	scratch_store_dwordx4 off, v[126:129], off offset:512 ; 16-byte Folded Spill
	v_fmac_f64_e32 v[118:119], v[114:115], v[232:233]
	s_nop 0
	v_fma_f64 v[126:127], v[104:105], v[246:247], -v[110:111]
	v_mul_f64 v[110:111], v[104:105], v[248:249]
	v_mul_lo_u16_sdwa v104, v194, s2 dst_sel:DWORD dst_unused:UNUSED_PAD src0_sel:BYTE_0 src1_sel:DWORD
	v_lshrrev_b16_e32 v203, 9, v104
	v_mul_lo_u16_e32 v104, 3, v203
	v_sub_u16_e32 v104, v194, v104
	v_and_b32_e32 v204, 0xff, v104
	v_lshlrev_b32_e32 v104, 6, v204
	global_load_dwordx4 v[112:115], v104, s[6:7] offset:48
	global_load_dwordx4 v[130:133], v104, s[6:7] offset:32
	;; [unrolled: 1-line block ×3, first 2 shown]
	global_load_dwordx4 v[138:141], v104, s[6:7]
	s_mov_b32 s2, 0xaaab
	v_fmac_f64_e32 v[110:111], v[106:107], v[246:247]
	s_waitcnt vmcnt(3)
	scratch_store_dwordx4 off, v[112:115], off offset:528 ; 16-byte Folded Spill
	s_waitcnt vmcnt(3)
	scratch_store_dwordx4 off, v[130:133], off offset:544 ; 16-byte Folded Spill
	;; [unrolled: 2-line block ×3, first 2 shown]
	s_waitcnt vmcnt(3)
	v_mul_f64 v[104:105], v[102:103], v[140:141]
	v_fma_f64 v[146:147], v[100:101], v[138:139], -v[104:105]
	v_mul_f64 v[128:129], v[100:101], v[140:141]
	v_mul_f64 v[100:101], v[98:99], v[136:137]
	v_fmac_f64_e32 v[128:129], v[102:103], v[138:139]
	v_fma_f64 v[102:103], v[96:97], v[134:135], -v[100:101]
	v_mul_f64 v[96:97], v[96:97], v[136:137]
	v_fmac_f64_e32 v[96:97], v[98:99], v[134:135]
	v_mul_f64 v[98:99], v[94:95], v[132:133]
	v_fma_f64 v[148:149], v[92:93], v[130:131], -v[98:99]
	v_mul_f64 v[98:99], v[92:93], v[132:133]
	v_mul_f64 v[92:93], v[90:91], v[114:115]
	v_fmac_f64_e32 v[98:99], v[94:95], v[130:131]
	v_fma_f64 v[150:151], v[88:89], v[112:113], -v[92:93]
	v_mul_f64 v[130:131], v[88:89], v[114:115]
	v_mul_u32_u24_sdwa v88, v198, s2 dst_sel:DWORD dst_unused:UNUSED_PAD src0_sel:WORD_0 src1_sel:DWORD
	v_lshrrev_b32_e32 v201, 17, v88
	v_mul_lo_u16_e32 v88, 3, v201
	v_sub_u16_e32 v202, v198, v88
	v_lshlrev_b16_e32 v88, 2, v202
	scratch_store_dwordx4 off, v[138:141], off offset:576 ; 16-byte Folded Spill
	v_lshlrev_b32_e32 v88, 4, v88
	v_fmac_f64_e32 v[130:131], v[90:91], v[112:113]
	global_load_dwordx4 v[90:93], v88, s[6:7] offset:48
	global_load_dwordx4 v[104:107], v88, s[6:7] offset:32
	;; [unrolled: 1-line block ×3, first 2 shown]
	global_load_dwordx4 v[238:241], v88, s[6:7]
	s_waitcnt vmcnt(2)
	v_mul_f64 v[156:157], v[76:77], v[106:107]
	s_waitcnt vmcnt(1)
	v_mul_f64 v[154:155], v[80:81], v[114:115]
	;; [unrolled: 2-line block ×3, first 2 shown]
	v_fma_f64 v[158:159], v[84:85], v[238:239], -v[88:89]
	v_mul_f64 v[152:153], v[84:85], v[240:241]
	v_mul_f64 v[84:85], v[82:83], v[114:115]
	v_fma_f64 v[160:161], v[80:81], v[112:113], -v[84:85]
	v_mul_f64 v[80:81], v[78:79], v[106:107]
	v_fma_f64 v[164:165], v[76:77], v[104:105], -v[80:81]
	v_mul_f64 v[76:77], v[74:75], v[92:93]
	v_fmac_f64_e32 v[156:157], v[78:79], v[104:105]
	v_fma_f64 v[78:79], v[72:73], v[90:91], -v[76:77]
	v_mul_f64 v[72:73], v[72:73], v[92:93]
	v_fmac_f64_e32 v[72:73], v[74:75], v[90:91]
	v_mul_u32_u24_sdwa v74, v200, s2 dst_sel:DWORD dst_unused:UNUSED_PAD src0_sel:WORD_0 src1_sel:DWORD
	v_lshrrev_b32_e32 v195, 17, v74
	v_mul_lo_u16_e32 v74, 3, v195
	v_sub_u16_e32 v199, v200, v74
	v_lshlrev_b16_e32 v74, 2, v199
	scratch_store_dwordx4 off, v[112:115], off offset:592 ; 16-byte Folded Spill
	scratch_store_dwordx4 off, v[104:107], off offset:608 ; 16-byte Folded Spill
	;; [unrolled: 1-line block ×3, first 2 shown]
	v_lshlrev_b32_e32 v74, 4, v74
	v_fmac_f64_e32 v[152:153], v[86:87], v[238:239]
	v_fmac_f64_e32 v[154:155], v[82:83], v[112:113]
	global_load_dwordx4 v[80:83], v74, s[6:7] offset:48
	global_load_dwordx4 v[84:87], v74, s[6:7] offset:32
	;; [unrolled: 1-line block ×3, first 2 shown]
	global_load_dwordx4 v[92:95], v74, s[6:7]
	s_waitcnt vmcnt(2) lgkmcnt(11)
	v_mul_f64 v[134:135], v[60:61], v[86:87]
	s_waitcnt vmcnt(1)
	v_mul_f64 v[166:167], v[64:65], v[90:91]
	s_waitcnt vmcnt(0)
	v_mul_f64 v[74:75], v[70:71], v[94:95]
	v_fma_f64 v[132:133], v[68:69], v[92:93], -v[74:75]
	v_mul_f64 v[162:163], v[68:69], v[94:95]
	v_mul_f64 v[68:69], v[66:67], v[90:91]
	v_fma_f64 v[168:169], v[64:65], v[88:89], -v[68:69]
	v_mul_f64 v[64:65], v[62:63], v[86:87]
	v_fma_f64 v[172:173], v[60:61], v[84:85], -v[64:65]
	s_waitcnt lgkmcnt(10)
	v_mul_f64 v[60:61], v[58:59], v[82:83]
	v_fmac_f64_e32 v[134:135], v[62:63], v[84:85]
	v_fma_f64 v[62:63], v[56:57], v[80:81], -v[60:61]
	v_mul_f64 v[56:57], v[56:57], v[82:83]
	v_fmac_f64_e32 v[56:57], v[58:59], v[80:81]
	v_mul_u32_u24_sdwa v58, v220, s2 dst_sel:DWORD dst_unused:UNUSED_PAD src0_sel:WORD_0 src1_sel:DWORD
	v_lshrrev_b32_e32 v177, 17, v58
	v_mul_lo_u16_e32 v58, 3, v177
	v_sub_u16_e32 v181, v220, v58
	v_lshlrev_b16_e32 v58, 2, v181
	scratch_store_dwordx4 off, v[92:95], off offset:640 ; 16-byte Folded Spill
	scratch_store_dwordx4 off, v[88:91], off offset:656 ; 16-byte Folded Spill
	;; [unrolled: 1-line block ×4, first 2 shown]
	v_lshlrev_b32_e32 v58, 4, v58
	v_fmac_f64_e32 v[162:163], v[70:71], v[92:93]
	v_fmac_f64_e32 v[166:167], v[66:67], v[88:89]
	global_load_dwordx4 v[64:67], v58, s[6:7] offset:48
	global_load_dwordx4 v[68:71], v58, s[6:7] offset:32
	;; [unrolled: 1-line block ×3, first 2 shown]
	global_load_dwordx4 v[80:83], v58, s[6:7]
	s_waitcnt vmcnt(2) lgkmcnt(6)
	v_mul_f64 v[182:183], v[44:45], v[70:71]
	s_waitcnt vmcnt(1)
	v_mul_f64 v[178:179], v[48:49], v[76:77]
	s_waitcnt vmcnt(0)
	v_mul_f64 v[58:59], v[54:55], v[82:83]
	v_fma_f64 v[136:137], v[52:53], v[80:81], -v[58:59]
	v_mul_f64 v[170:171], v[52:53], v[82:83]
	v_mul_f64 v[52:53], v[50:51], v[76:77]
	v_fma_f64 v[184:185], v[48:49], v[74:75], -v[52:53]
	v_mul_f64 v[48:49], v[46:47], v[70:71]
	v_fma_f64 v[188:189], v[44:45], v[68:69], -v[48:49]
	s_waitcnt lgkmcnt(5)
	v_mul_f64 v[44:45], v[42:43], v[66:67]
	v_fmac_f64_e32 v[182:183], v[46:47], v[68:69]
	v_fma_f64 v[46:47], v[40:41], v[64:65], -v[44:45]
	v_mul_f64 v[40:41], v[40:41], v[66:67]
	v_fmac_f64_e32 v[40:41], v[42:43], v[64:65]
	v_mul_u32_u24_sdwa v42, v218, s2 dst_sel:DWORD dst_unused:UNUSED_PAD src0_sel:WORD_0 src1_sel:DWORD
	v_lshrrev_b32_e32 v144, 17, v42
	v_mul_lo_u16_e32 v42, 3, v144
	v_sub_u16_e32 v145, v218, v42
	v_lshlrev_b16_e32 v42, 2, v145
	scratch_store_dwordx4 off, v[80:83], off offset:704 ; 16-byte Folded Spill
	scratch_store_dwordx4 off, v[74:77], off offset:720 ; 16-byte Folded Spill
	;; [unrolled: 1-line block ×4, first 2 shown]
	v_lshlrev_b32_e32 v42, 4, v42
	v_fmac_f64_e32 v[170:171], v[54:55], v[80:81]
	v_fmac_f64_e32 v[178:179], v[50:51], v[74:75]
	global_load_dwordx4 v[48:51], v42, s[6:7] offset:48
	global_load_dwordx4 v[52:55], v42, s[6:7] offset:32
	;; [unrolled: 1-line block ×3, first 2 shown]
	global_load_dwordx4 v[64:67], v42, s[6:7]
	s_mov_b32 s2, 0x134454ff
	s_mov_b32 s3, 0x3fee6f0e
	;; [unrolled: 1-line block ×3, first 2 shown]
	s_waitcnt vmcnt(3) lgkmcnt(0)
	v_mul_f64 v[142:143], v[24:25], v[50:51]
	s_waitcnt vmcnt(2)
	v_mul_f64 v[192:193], v[28:29], v[54:55]
	s_waitcnt vmcnt(1)
	;; [unrolled: 2-line block ×3, first 2 shown]
	v_mul_f64 v[42:43], v[38:39], v[66:67]
	v_fma_f64 v[138:139], v[36:37], v[64:65], -v[42:43]
	v_mul_f64 v[186:187], v[36:37], v[66:67]
	v_mul_f64 v[36:37], v[34:35], v[60:61]
	v_fma_f64 v[140:141], v[32:33], v[58:59], -v[36:37]
	v_mul_f64 v[32:33], v[30:31], v[54:55]
	v_fma_f64 v[196:197], v[28:29], v[52:53], -v[32:33]
	v_mul_f64 v[28:29], v[26:27], v[50:51]
	v_fmac_f64_e32 v[192:193], v[30:31], v[52:53]
	v_fma_f64 v[30:31], v[24:25], v[48:49], -v[28:29]
	v_add_f64 v[24:25], v[20:21], v[120:121]
	v_add_f64 v[24:25], v[24:25], v[122:123]
	;; [unrolled: 1-line block ×5, first 2 shown]
	v_fma_f64 v[80:81], -0.5, v[24:25], v[20:21]
	v_add_f64 v[24:25], v[116:117], -v[110:111]
	v_fmac_f64_e32 v[142:143], v[26:27], v[48:49]
	v_fma_f64 v[104:105], s[2:3], v[24:25], v[80:81]
	v_add_f64 v[26:27], v[118:119], -v[108:109]
	v_add_f64 v[28:29], v[120:121], -v[122:123]
	v_add_f64 v[32:33], v[126:127], -v[124:125]
	v_fmac_f64_e32 v[80:81], s[12:13], v[24:25]
	v_fmac_f64_e32 v[104:105], s[8:9], v[26:27]
	v_add_f64 v[28:29], v[28:29], v[32:33]
	v_fmac_f64_e32 v[80:81], s[10:11], v[26:27]
	v_fmac_f64_e32 v[104:105], s[4:5], v[28:29]
	v_fmac_f64_e32 v[80:81], s[4:5], v[28:29]
	v_add_f64 v[28:29], v[120:121], v[126:127]
	v_fmac_f64_e32 v[20:21], -0.5, v[28:29]
	v_fma_f64 v[92:93], s[12:13], v[26:27], v[20:21]
	v_fmac_f64_e32 v[20:21], s[2:3], v[26:27]
	v_fmac_f64_e32 v[92:93], s[8:9], v[24:25]
	v_fmac_f64_e32 v[20:21], s[10:11], v[24:25]
	v_add_f64 v[24:25], v[22:23], v[116:117]
	v_add_f64 v[24:25], v[24:25], v[118:119]
	v_add_f64 v[24:25], v[24:25], v[108:109]
	v_add_f64 v[28:29], v[122:123], -v[120:121]
	v_add_f64 v[32:33], v[124:125], -v[126:127]
	v_add_f64 v[114:115], v[24:25], v[110:111]
	v_add_f64 v[24:25], v[118:119], v[108:109]
	v_add_f64 v[28:29], v[28:29], v[32:33]
	v_fma_f64 v[82:83], -0.5, v[24:25], v[22:23]
	v_add_f64 v[24:25], v[120:121], -v[126:127]
	v_fmac_f64_e32 v[92:93], s[4:5], v[28:29]
	v_fmac_f64_e32 v[20:21], s[4:5], v[28:29]
	v_fma_f64 v[106:107], s[12:13], v[24:25], v[82:83]
	v_add_f64 v[26:27], v[122:123], -v[124:125]
	v_add_f64 v[28:29], v[116:117], -v[118:119]
	v_add_f64 v[32:33], v[110:111], -v[108:109]
	v_fmac_f64_e32 v[82:83], s[2:3], v[24:25]
	v_fmac_f64_e32 v[106:107], s[10:11], v[26:27]
	v_add_f64 v[28:29], v[28:29], v[32:33]
	v_fmac_f64_e32 v[82:83], s[8:9], v[26:27]
	v_fmac_f64_e32 v[106:107], s[4:5], v[28:29]
	v_fmac_f64_e32 v[82:83], s[4:5], v[28:29]
	v_add_f64 v[28:29], v[116:117], v[110:111]
	v_fmac_f64_e32 v[22:23], -0.5, v[28:29]
	v_fma_f64 v[94:95], s[2:3], v[26:27], v[22:23]
	v_fmac_f64_e32 v[22:23], s[12:13], v[26:27]
	v_fmac_f64_e32 v[94:95], s[10:11], v[24:25]
	v_fmac_f64_e32 v[22:23], s[8:9], v[24:25]
	v_add_f64 v[24:25], v[16:17], v[146:147]
	v_add_f64 v[24:25], v[24:25], v[102:103]
	v_add_f64 v[24:25], v[24:25], v[148:149]
	v_add_f64 v[28:29], v[118:119], -v[116:117]
	v_add_f64 v[32:33], v[108:109], -v[110:111]
	v_add_f64 v[116:117], v[24:25], v[150:151]
	v_add_f64 v[24:25], v[102:103], v[148:149]
	v_add_f64 v[28:29], v[28:29], v[32:33]
	v_fma_f64 v[88:89], -0.5, v[24:25], v[16:17]
	v_add_f64 v[24:25], v[128:129], -v[130:131]
	v_fmac_f64_e32 v[94:95], s[4:5], v[28:29]
	;; [unrolled: 28-line block ×5, first 2 shown]
	v_fmac_f64_e32 v[12:13], s[4:5], v[28:29]
	v_fma_f64 v[86:87], s[12:13], v[24:25], v[70:71]
	v_add_f64 v[26:27], v[160:161], -v[164:165]
	v_add_f64 v[28:29], v[152:153], -v[154:155]
	;; [unrolled: 1-line block ×3, first 2 shown]
	v_fmac_f64_e32 v[70:71], s[2:3], v[24:25]
	v_fmac_f64_e32 v[86:87], s[10:11], v[26:27]
	v_add_f64 v[28:29], v[28:29], v[32:33]
	v_fmac_f64_e32 v[70:71], s[8:9], v[26:27]
	v_fmac_f64_e32 v[86:87], s[4:5], v[28:29]
	v_fmac_f64_e32 v[70:71], s[4:5], v[28:29]
	v_add_f64 v[28:29], v[152:153], v[72:73]
	v_fmac_f64_e32 v[14:15], -0.5, v[28:29]
	v_fma_f64 v[78:79], s[2:3], v[26:27], v[14:15]
	v_fmac_f64_e32 v[14:15], s[12:13], v[26:27]
	v_fmac_f64_e32 v[78:79], s[10:11], v[24:25]
	;; [unrolled: 1-line block ×3, first 2 shown]
	v_add_f64 v[24:25], v[8:9], v[132:133]
	v_add_f64 v[24:25], v[24:25], v[168:169]
	;; [unrolled: 1-line block ×3, first 2 shown]
	v_add_f64 v[28:29], v[154:155], -v[152:153]
	v_add_f64 v[32:33], v[156:157], -v[72:73]
	v_add_f64 v[72:73], v[24:25], v[62:63]
	v_add_f64 v[24:25], v[168:169], v[172:173]
	scratch_store_dwordx4 off, v[52:55], off offset:800 ; 16-byte Folded Spill
	v_add_f64 v[28:29], v[28:29], v[32:33]
	scratch_store_dwordx4 off, v[64:67], off offset:768 ; 16-byte Folded Spill
	v_fma_f64 v[52:53], -0.5, v[24:25], v[8:9]
	v_add_f64 v[24:25], v[162:163], -v[56:57]
	v_fmac_f64_e32 v[186:187], v[38:39], v[64:65]
	v_fmac_f64_e32 v[78:79], s[4:5], v[28:29]
	;; [unrolled: 1-line block ×3, first 2 shown]
	v_fma_f64 v[64:65], s[2:3], v[24:25], v[52:53]
	v_add_f64 v[26:27], v[166:167], -v[134:135]
	v_add_f64 v[28:29], v[132:133], -v[168:169]
	;; [unrolled: 1-line block ×3, first 2 shown]
	v_fmac_f64_e32 v[52:53], s[12:13], v[24:25]
	v_fmac_f64_e32 v[64:65], s[8:9], v[26:27]
	v_add_f64 v[28:29], v[28:29], v[32:33]
	v_fmac_f64_e32 v[52:53], s[10:11], v[26:27]
	v_fmac_f64_e32 v[64:65], s[4:5], v[28:29]
	v_fmac_f64_e32 v[52:53], s[4:5], v[28:29]
	v_add_f64 v[28:29], v[132:133], v[62:63]
	v_fmac_f64_e32 v[8:9], -0.5, v[28:29]
	scratch_store_dwordx4 off, v[58:61], off offset:784 ; 16-byte Folded Spill
	v_add_f64 v[28:29], v[168:169], -v[132:133]
	v_add_f64 v[32:33], v[172:173], -v[62:63]
	v_fma_f64 v[60:61], s[12:13], v[26:27], v[8:9]
	v_fmac_f64_e32 v[8:9], s[2:3], v[26:27]
	v_fmac_f64_e32 v[60:61], s[8:9], v[24:25]
	;; [unrolled: 1-line block ×3, first 2 shown]
	v_add_f64 v[24:25], v[10:11], v[162:163]
	v_add_f64 v[24:25], v[24:25], v[166:167]
	;; [unrolled: 1-line block ×6, first 2 shown]
	v_fma_f64 v[54:55], -0.5, v[24:25], v[10:11]
	v_add_f64 v[24:25], v[132:133], -v[62:63]
	v_fmac_f64_e32 v[60:61], s[4:5], v[28:29]
	v_fmac_f64_e32 v[8:9], s[4:5], v[28:29]
	v_fma_f64 v[66:67], s[12:13], v[24:25], v[54:55]
	v_add_f64 v[26:27], v[168:169], -v[172:173]
	v_add_f64 v[28:29], v[162:163], -v[166:167]
	;; [unrolled: 1-line block ×3, first 2 shown]
	v_fmac_f64_e32 v[54:55], s[2:3], v[24:25]
	v_fmac_f64_e32 v[66:67], s[10:11], v[26:27]
	v_add_f64 v[28:29], v[28:29], v[32:33]
	v_fmac_f64_e32 v[54:55], s[8:9], v[26:27]
	v_fmac_f64_e32 v[66:67], s[4:5], v[28:29]
	v_fmac_f64_e32 v[54:55], s[4:5], v[28:29]
	v_add_f64 v[28:29], v[162:163], v[56:57]
	v_fmac_f64_e32 v[10:11], -0.5, v[28:29]
	v_fma_f64 v[62:63], s[2:3], v[26:27], v[10:11]
	v_fmac_f64_e32 v[10:11], s[12:13], v[26:27]
	v_fmac_f64_e32 v[62:63], s[10:11], v[24:25]
	;; [unrolled: 1-line block ×3, first 2 shown]
	v_add_f64 v[24:25], v[4:5], v[136:137]
	v_add_f64 v[24:25], v[24:25], v[184:185]
	v_add_f64 v[24:25], v[24:25], v[188:189]
	v_add_f64 v[28:29], v[166:167], -v[162:163]
	v_add_f64 v[32:33], v[134:135], -v[56:57]
	v_add_f64 v[56:57], v[24:25], v[46:47]
	v_add_f64 v[24:25], v[184:185], v[188:189]
	v_accvgpr_write_b32 a207, v51
	v_add_f64 v[28:29], v[28:29], v[32:33]
	v_fma_f64 v[36:37], -0.5, v[24:25], v[4:5]
	v_add_f64 v[24:25], v[170:171], -v[40:41]
	v_accvgpr_write_b32 a206, v50
	v_accvgpr_write_b32 a205, v49
	v_accvgpr_write_b32 a204, v48
	v_fmac_f64_e32 v[62:63], s[4:5], v[28:29]
	v_fmac_f64_e32 v[10:11], s[4:5], v[28:29]
	v_fma_f64 v[48:49], s[2:3], v[24:25], v[36:37]
	v_add_f64 v[26:27], v[178:179], -v[182:183]
	v_add_f64 v[28:29], v[136:137], -v[184:185]
	;; [unrolled: 1-line block ×3, first 2 shown]
	v_fmac_f64_e32 v[36:37], s[12:13], v[24:25]
	v_fmac_f64_e32 v[48:49], s[8:9], v[26:27]
	v_add_f64 v[28:29], v[28:29], v[32:33]
	v_fmac_f64_e32 v[36:37], s[10:11], v[26:27]
	v_fmac_f64_e32 v[48:49], s[4:5], v[28:29]
	;; [unrolled: 1-line block ×3, first 2 shown]
	v_add_f64 v[28:29], v[136:137], v[46:47]
	v_fmac_f64_e32 v[4:5], -0.5, v[28:29]
	v_fma_f64 v[44:45], s[12:13], v[26:27], v[4:5]
	v_fmac_f64_e32 v[4:5], s[2:3], v[26:27]
	v_fmac_f64_e32 v[44:45], s[8:9], v[24:25]
	;; [unrolled: 1-line block ×3, first 2 shown]
	v_add_f64 v[24:25], v[6:7], v[170:171]
	v_add_f64 v[24:25], v[24:25], v[178:179]
	;; [unrolled: 1-line block ×3, first 2 shown]
	v_fmac_f64_e32 v[190:191], v[34:35], v[58:59]
	v_add_f64 v[28:29], v[184:185], -v[136:137]
	v_add_f64 v[32:33], v[188:189], -v[46:47]
	v_add_f64 v[58:59], v[24:25], v[40:41]
	v_add_f64 v[24:25], v[178:179], v[182:183]
	;; [unrolled: 1-line block ×3, first 2 shown]
	v_fma_f64 v[38:39], -0.5, v[24:25], v[6:7]
	v_add_f64 v[24:25], v[136:137], -v[46:47]
	v_fmac_f64_e32 v[44:45], s[4:5], v[28:29]
	v_fmac_f64_e32 v[4:5], s[4:5], v[28:29]
	v_fma_f64 v[50:51], s[12:13], v[24:25], v[38:39]
	v_add_f64 v[26:27], v[184:185], -v[188:189]
	v_add_f64 v[28:29], v[170:171], -v[178:179]
	;; [unrolled: 1-line block ×3, first 2 shown]
	v_fmac_f64_e32 v[38:39], s[2:3], v[24:25]
	v_fmac_f64_e32 v[50:51], s[10:11], v[26:27]
	v_add_f64 v[28:29], v[28:29], v[32:33]
	v_fmac_f64_e32 v[38:39], s[8:9], v[26:27]
	v_fmac_f64_e32 v[50:51], s[4:5], v[28:29]
	;; [unrolled: 1-line block ×3, first 2 shown]
	v_add_f64 v[28:29], v[170:171], v[40:41]
	v_fmac_f64_e32 v[6:7], -0.5, v[28:29]
	v_fma_f64 v[46:47], s[2:3], v[26:27], v[6:7]
	v_fmac_f64_e32 v[6:7], s[12:13], v[26:27]
	v_fmac_f64_e32 v[46:47], s[10:11], v[24:25]
	;; [unrolled: 1-line block ×3, first 2 shown]
	v_add_f64 v[24:25], v[0:1], v[138:139]
	v_add_f64 v[24:25], v[24:25], v[140:141]
	v_add_f64 v[24:25], v[24:25], v[196:197]
	v_add_f64 v[28:29], v[178:179], -v[170:171]
	v_add_f64 v[32:33], v[182:183], -v[40:41]
	v_add_f64 v[40:41], v[24:25], v[30:31]
	v_add_f64 v[24:25], v[140:141], v[196:197]
	;; [unrolled: 1-line block ×3, first 2 shown]
	v_fma_f64 v[24:25], -0.5, v[24:25], v[0:1]
	v_add_f64 v[26:27], v[186:187], -v[142:143]
	v_fmac_f64_e32 v[46:47], s[4:5], v[28:29]
	v_fmac_f64_e32 v[6:7], s[4:5], v[28:29]
	v_fma_f64 v[32:33], s[2:3], v[26:27], v[24:25]
	v_add_f64 v[34:35], v[190:191], -v[192:193]
	v_add_f64 v[28:29], v[138:139], -v[140:141]
	;; [unrolled: 1-line block ×3, first 2 shown]
	v_fmac_f64_e32 v[24:25], s[12:13], v[26:27]
	v_fmac_f64_e32 v[32:33], s[8:9], v[34:35]
	v_add_f64 v[28:29], v[28:29], v[42:43]
	v_fmac_f64_e32 v[24:25], s[10:11], v[34:35]
	v_fmac_f64_e32 v[32:33], s[4:5], v[28:29]
	v_fmac_f64_e32 v[24:25], s[4:5], v[28:29]
	v_add_f64 v[28:29], v[138:139], v[30:31]
	v_fmac_f64_e32 v[0:1], -0.5, v[28:29]
	v_fma_f64 v[28:29], s[12:13], v[34:35], v[0:1]
	v_fmac_f64_e32 v[0:1], s[2:3], v[34:35]
	v_fmac_f64_e32 v[28:29], s[8:9], v[26:27]
	;; [unrolled: 1-line block ×3, first 2 shown]
	v_add_f64 v[26:27], v[2:3], v[186:187]
	v_add_f64 v[42:43], v[140:141], -v[138:139]
	v_add_f64 v[120:121], v[196:197], -v[30:31]
	v_add_f64 v[26:27], v[26:27], v[190:191]
	v_add_f64 v[42:43], v[42:43], v[120:121]
	v_add_f64 v[26:27], v[26:27], v[192:193]
	v_fmac_f64_e32 v[28:29], s[4:5], v[42:43]
	v_fmac_f64_e32 v[0:1], s[4:5], v[42:43]
	v_add_f64 v[42:43], v[26:27], v[142:143]
	v_add_f64 v[26:27], v[190:191], v[192:193]
	v_fma_f64 v[26:27], -0.5, v[26:27], v[2:3]
	v_add_f64 v[120:121], v[138:139], -v[30:31]
	v_fma_f64 v[34:35], s[12:13], v[120:121], v[26:27]
	v_add_f64 v[122:123], v[140:141], -v[196:197]
	v_add_f64 v[30:31], v[186:187], -v[190:191]
	;; [unrolled: 1-line block ×3, first 2 shown]
	v_fmac_f64_e32 v[26:27], s[2:3], v[120:121]
	v_fmac_f64_e32 v[34:35], s[10:11], v[122:123]
	v_add_f64 v[30:31], v[30:31], v[124:125]
	v_fmac_f64_e32 v[26:27], s[8:9], v[122:123]
	v_fmac_f64_e32 v[34:35], s[4:5], v[30:31]
	;; [unrolled: 1-line block ×3, first 2 shown]
	v_add_f64 v[30:31], v[186:187], v[142:143]
	v_fmac_f64_e32 v[2:3], -0.5, v[30:31]
	v_fma_f64 v[30:31], s[2:3], v[122:123], v[2:3]
	v_fmac_f64_e32 v[2:3], s[12:13], v[122:123]
	v_fmac_f64_e32 v[30:31], s[10:11], v[120:121]
	;; [unrolled: 1-line block ×3, first 2 shown]
	v_mul_u32_u24_e32 v120, 15, v205
	v_add_lshl_u32 v120, v120, v206, 4
	s_barrier
	ds_write_b128 v120, v[112:115]
	scratch_store_dword off, v120, off      ; 4-byte Folded Spill
	ds_write_b128 v120, v[104:107] offset:48
	ds_write_b128 v120, v[92:95] offset:96
	;; [unrolled: 1-line block ×4, first 2 shown]
	v_mul_u32_u24_e32 v20, 15, v203
	v_add_lshl_u32 v20, v20, v204, 4
	ds_write_b128 v20, v[116:119]
	scratch_store_dword off, v20, off offset:4 ; 4-byte Folded Spill
	ds_write_b128 v20, v[108:111] offset:48
	ds_write_b128 v20, v[100:103] offset:96
	ds_write_b128 v20, v[16:19] offset:144
	ds_write_b128 v20, v[88:91] offset:192
	v_mad_legacy_u16 v16, v201, 15, v202
	v_lshlrev_b32_e32 v16, 4, v16
	ds_write_b128 v16, v[96:99]
	scratch_store_dword off, v16, off offset:8 ; 4-byte Folded Spill
	ds_write_b128 v16, v[84:87] offset:48
	ds_write_b128 v16, v[76:79] offset:96
	;; [unrolled: 1-line block ×4, first 2 shown]
	v_mad_legacy_u16 v12, v195, 15, v199
	v_mul_lo_u16_sdwa v120, v176, s18 dst_sel:DWORD dst_unused:UNUSED_PAD src0_sel:BYTE_0 src1_sel:DWORD
	v_lshlrev_b32_e32 v12, 4, v12
	v_lshrrev_b16_e32 v203, 11, v120
	ds_write_b128 v12, v[72:75]
	scratch_store_dword off, v12, off offset:12 ; 4-byte Folded Spill
	ds_write_b128 v12, v[64:67] offset:48
	ds_write_b128 v12, v[60:63] offset:96
	;; [unrolled: 1-line block ×4, first 2 shown]
	v_mad_legacy_u16 v8, v177, 15, v181
	v_mul_lo_u16_e32 v120, 15, v203
	v_add_f64 v[124:125], v[190:191], -v[186:187]
	v_add_f64 v[126:127], v[192:193], -v[142:143]
	v_lshlrev_b32_e32 v242, 4, v8
	v_sub_u16_e32 v120, v176, v120
	v_add_f64 v[124:125], v[124:125], v[126:127]
	ds_write_b128 v242, v[56:59]
	ds_write_b128 v242, v[48:51] offset:48
	ds_write_b128 v242, v[44:47] offset:96
	ds_write_b128 v242, v[4:7] offset:144
	ds_write_b128 v242, v[36:39] offset:192
	v_mad_legacy_u16 v4, v144, 15, v145
	v_and_b32_e32 v204, 0xff, v120
	v_fmac_f64_e32 v[30:31], s[4:5], v[124:125]
	v_fmac_f64_e32 v[2:3], s[4:5], v[124:125]
	v_lshlrev_b32_e32 v243, 4, v4
	v_lshlrev_b32_e32 v120, 6, v204
	ds_write_b128 v243, v[40:43]
	ds_write_b128 v243, v[32:35] offset:48
	ds_write_b128 v243, v[28:31] offset:96
	ds_write_b128 v243, v[0:3] offset:144
	ds_write_b128 v243, v[24:27] offset:192
	s_waitcnt lgkmcnt(0)
	s_barrier
	ds_read_b128 v[20:23], v210
	ds_read_b128 v[116:119], v210 offset:12000
	ds_read_b128 v[112:115], v210 offset:24000
	;; [unrolled: 1-line block ×29, first 2 shown]
	global_load_dwordx4 v[130:133], v120, s[6:7] offset:240
	global_load_dwordx4 v[126:129], v120, s[6:7] offset:224
	;; [unrolled: 1-line block ×4, first 2 shown]
	s_waitcnt vmcnt(3)
	v_accvgpr_write_b32 a223, v133
	v_accvgpr_write_b32 a222, v132
	s_waitcnt vmcnt(1)
	v_accvgpr_write_b32 a215, v137
	s_waitcnt vmcnt(0) lgkmcnt(14)
	v_mul_f64 v[120:121], v[118:119], v[140:141]
	v_fma_f64 v[122:123], v[116:117], v[138:139], -v[120:121]
	v_mul_f64 v[120:121], v[116:117], v[140:141]
	v_mul_f64 v[116:117], v[114:115], v[136:137]
	v_fmac_f64_e32 v[120:121], v[118:119], v[138:139]
	v_fma_f64 v[124:125], v[112:113], v[134:135], -v[116:117]
	v_mov_b64_e32 v[116:117], v[126:127]
	v_mul_f64 v[112:113], v[112:113], v[136:137]
	v_mov_b64_e32 v[118:119], v[128:129]
	v_fmac_f64_e32 v[112:113], v[114:115], v[134:135]
	v_mul_f64 v[114:115], v[110:111], v[118:119]
	v_fma_f64 v[128:129], v[108:109], v[116:117], -v[114:115]
	v_mul_f64 v[114:115], v[108:109], v[118:119]
	v_mul_f64 v[108:109], v[106:107], v[132:133]
	v_fmac_f64_e32 v[114:115], v[110:111], v[116:117]
	v_fma_f64 v[110:111], v[104:105], v[130:131], -v[108:109]
	v_mul_f64 v[104:105], v[104:105], v[132:133]
	v_fmac_f64_e32 v[104:105], v[106:107], v[130:131]
	v_mul_lo_u16_sdwa v106, v194, s18 dst_sel:DWORD dst_unused:UNUSED_PAD src0_sel:BYTE_0 src1_sel:DWORD
	v_lshrrev_b16_e32 v201, 11, v106
	v_mul_lo_u16_e32 v106, 15, v201
	v_sub_u16_e32 v106, v194, v106
	v_and_b32_e32 v202, 0xff, v106
	v_accvgpr_write_b32 a211, v141
	v_accvgpr_write_b32 a219, v119
	v_lshlrev_b32_e32 v106, 6, v202
	v_accvgpr_write_b32 a210, v140
	v_accvgpr_write_b32 a209, v139
	;; [unrolled: 1-line block ×11, first 2 shown]
	global_load_dwordx4 v[116:119], v106, s[6:7] offset:240
	global_load_dwordx4 v[132:135], v106, s[6:7] offset:224
	;; [unrolled: 1-line block ×4, first 2 shown]
	s_mov_b32 s18, 0x8889
	s_waitcnt vmcnt(3)
	v_accvgpr_write_b32 a239, v119
	s_waitcnt vmcnt(2)
	v_accvgpr_write_b32 a235, v135
	s_waitcnt vmcnt(1)
	v_mul_f64 v[130:131], v[96:97], v[138:139]
	s_waitcnt vmcnt(0)
	v_mul_f64 v[106:107], v[102:103], v[142:143]
	v_fma_f64 v[106:107], v[100:101], v[140:141], -v[106:107]
	v_mul_f64 v[126:127], v[100:101], v[142:143]
	v_mul_f64 v[100:101], v[98:99], v[138:139]
	v_fma_f64 v[146:147], v[96:97], v[136:137], -v[100:101]
	v_mul_f64 v[96:97], v[94:95], v[134:135]
	v_fmac_f64_e32 v[130:131], v[98:99], v[136:137]
	v_fma_f64 v[98:99], v[92:93], v[132:133], -v[96:97]
	v_mul_f64 v[92:93], v[92:93], v[134:135]
	v_fmac_f64_e32 v[92:93], v[94:95], v[132:133]
	v_mul_f64 v[94:95], v[90:91], v[118:119]
	v_accvgpr_write_b32 a234, v134
	v_accvgpr_write_b32 a233, v133
	;; [unrolled: 1-line block ×3, first 2 shown]
	v_fma_f64 v[134:135], v[88:89], v[116:117], -v[94:95]
	v_mul_f64 v[94:95], v[88:89], v[118:119]
	v_mul_u32_u24_sdwa v88, v198, s18 dst_sel:DWORD dst_unused:UNUSED_PAD src0_sel:WORD_0 src1_sel:DWORD
	v_lshrrev_b32_e32 v181, 19, v88
	v_mul_lo_u16_e32 v88, 15, v181
	v_sub_u16_e32 v199, v198, v88
	v_lshlrev_b16_e32 v88, 6, v199
	v_mov_b32_e32 v89, v211
	v_accvgpr_write_b32 a227, v143
	v_accvgpr_write_b32 a231, v139
	v_lshl_add_u64 v[88:89], s[6:7], 0, v[88:89]
	v_fmac_f64_e32 v[126:127], v[102:103], v[140:141]
	v_accvgpr_write_b32 a226, v142
	v_accvgpr_write_b32 a225, v141
	;; [unrolled: 1-line block ×6, first 2 shown]
	v_fmac_f64_e32 v[94:95], v[90:91], v[116:117]
	v_accvgpr_write_b32 a238, v118
	v_accvgpr_write_b32 a237, v117
	v_accvgpr_write_b32 a236, v116
	global_load_dwordx4 v[100:103], v[88:89], off offset:240
	global_load_dwordx4 v[116:119], v[88:89], off offset:224
	;; [unrolled: 1-line block ×4, first 2 shown]
	s_waitcnt vmcnt(3)
	v_accvgpr_write_b32 a255, v103
	s_waitcnt vmcnt(2)
	v_mul_f64 v[152:153], v[76:77], v[118:119]
	s_waitcnt vmcnt(1)
	v_mul_f64 v[132:133], v[80:81], v[138:139]
	;; [unrolled: 2-line block ×3, first 2 shown]
	v_fma_f64 v[150:151], v[84:85], v[140:141], -v[88:89]
	v_mul_f64 v[148:149], v[84:85], v[142:143]
	v_mul_f64 v[84:85], v[82:83], v[138:139]
	v_fma_f64 v[154:155], v[80:81], v[136:137], -v[84:85]
	v_mul_f64 v[80:81], v[78:79], v[118:119]
	v_fma_f64 v[158:159], v[76:77], v[116:117], -v[80:81]
	v_mul_f64 v[76:77], v[74:75], v[102:103]
	v_fmac_f64_e32 v[152:153], v[78:79], v[116:117]
	v_fma_f64 v[78:79], v[72:73], v[100:101], -v[76:77]
	v_mul_f64 v[72:73], v[72:73], v[102:103]
	v_fmac_f64_e32 v[72:73], v[74:75], v[100:101]
	v_mul_u32_u24_sdwa v74, v200, s18 dst_sel:DWORD dst_unused:UNUSED_PAD src0_sel:WORD_0 src1_sel:DWORD
	v_lshrrev_b32_e32 v196, 19, v74
	v_mul_lo_u16_e32 v74, 15, v196
	v_sub_u16_e32 v197, v200, v74
	v_lshlrev_b16_e32 v74, 6, v197
	v_mov_b32_e32 v75, v211
	v_lshl_add_u64 v[74:75], s[6:7], 0, v[74:75]
	v_fmac_f64_e32 v[148:149], v[86:87], v[140:141]
	v_fmac_f64_e32 v[132:133], v[82:83], v[136:137]
	v_accvgpr_write_b32 a254, v102
	v_accvgpr_write_b32 a253, v101
	;; [unrolled: 1-line block ×3, first 2 shown]
	global_load_dwordx4 v[80:83], v[74:75], off offset:240
	global_load_dwordx4 v[84:87], v[74:75], off offset:224
	;; [unrolled: 1-line block ×4, first 2 shown]
	v_accvgpr_write_b32 a247, v139
	v_accvgpr_write_b32 a246, v138
	;; [unrolled: 1-line block ×12, first 2 shown]
	s_waitcnt vmcnt(3)
	v_accvgpr_write_b32 a191, v83
	s_waitcnt vmcnt(2) lgkmcnt(11)
	v_mul_f64 v[162:163], v[60:61], v[86:87]
	s_waitcnt vmcnt(1)
	v_mul_f64 v[136:137], v[64:65], v[90:91]
	s_waitcnt vmcnt(0)
	v_mul_f64 v[74:75], v[70:71], v[102:103]
	v_fma_f64 v[160:161], v[68:69], v[100:101], -v[74:75]
	v_mul_f64 v[156:157], v[68:69], v[102:103]
	v_mul_f64 v[68:69], v[66:67], v[90:91]
	v_fma_f64 v[164:165], v[64:65], v[88:89], -v[68:69]
	v_mul_f64 v[64:65], v[62:63], v[86:87]
	v_fma_f64 v[166:167], v[60:61], v[84:85], -v[64:65]
	s_waitcnt lgkmcnt(10)
	v_mul_f64 v[60:61], v[58:59], v[82:83]
	v_fmac_f64_e32 v[162:163], v[62:63], v[84:85]
	v_fma_f64 v[62:63], v[56:57], v[80:81], -v[60:61]
	v_mul_f64 v[56:57], v[56:57], v[82:83]
	v_fmac_f64_e32 v[56:57], v[58:59], v[80:81]
	v_mul_u32_u24_sdwa v58, v220, s18 dst_sel:DWORD dst_unused:UNUSED_PAD src0_sel:WORD_0 src1_sel:DWORD
	v_lshrrev_b32_e32 v193, 19, v58
	v_mul_lo_u16_e32 v58, 15, v193
	v_sub_u16_e32 v195, v220, v58
	v_lshlrev_b16_e32 v58, 6, v195
	v_mov_b32_e32 v59, v211
	v_lshl_add_u64 v[58:59], s[6:7], 0, v[58:59]
	v_fmac_f64_e32 v[156:157], v[70:71], v[100:101]
	v_fmac_f64_e32 v[136:137], v[66:67], v[88:89]
	v_accvgpr_write_b32 a190, v82
	v_accvgpr_write_b32 a189, v81
	;; [unrolled: 1-line block ×3, first 2 shown]
	global_load_dwordx4 v[64:67], v[58:59], off offset:240
	global_load_dwordx4 v[68:71], v[58:59], off offset:224
	;; [unrolled: 1-line block ×4, first 2 shown]
	v_accvgpr_write_b32 a199, v91
	v_accvgpr_write_b32 a198, v90
	;; [unrolled: 1-line block ×12, first 2 shown]
	s_waitcnt vmcnt(3)
	v_accvgpr_write_b32 a175, v67
	s_waitcnt vmcnt(2) lgkmcnt(6)
	v_mul_f64 v[142:143], v[44:45], v[70:71]
	s_waitcnt vmcnt(1)
	v_mul_f64 v[168:169], v[48:49], v[76:77]
	s_waitcnt vmcnt(0)
	v_mul_f64 v[58:59], v[54:55], v[82:83]
	v_fma_f64 v[140:141], v[52:53], v[80:81], -v[58:59]
	v_mul_f64 v[138:139], v[52:53], v[82:83]
	v_mul_f64 v[52:53], v[50:51], v[76:77]
	v_fma_f64 v[144:145], v[48:49], v[74:75], -v[52:53]
	v_mul_f64 v[48:49], v[46:47], v[70:71]
	v_fma_f64 v[172:173], v[44:45], v[68:69], -v[48:49]
	s_waitcnt lgkmcnt(5)
	v_mul_f64 v[44:45], v[42:43], v[66:67]
	v_fmac_f64_e32 v[142:143], v[46:47], v[68:69]
	v_fma_f64 v[46:47], v[40:41], v[64:65], -v[44:45]
	v_mul_f64 v[40:41], v[40:41], v[66:67]
	v_fmac_f64_e32 v[40:41], v[42:43], v[64:65]
	v_mul_u32_u24_sdwa v42, v218, s18 dst_sel:DWORD dst_unused:UNUSED_PAD src0_sel:WORD_0 src1_sel:DWORD
	v_lshrrev_b32_e32 v177, 19, v42
	v_mul_lo_u16_e32 v42, 15, v177
	v_sub_u16_e32 v192, v218, v42
	v_lshlrev_b16_e32 v42, 6, v192
	v_mov_b32_e32 v43, v211
	v_lshl_add_u64 v[42:43], s[6:7], 0, v[42:43]
	v_fmac_f64_e32 v[138:139], v[54:55], v[80:81]
	v_fmac_f64_e32 v[168:169], v[50:51], v[74:75]
	global_load_dwordx4 v[48:51], v[42:43], off offset:240
	global_load_dwordx4 v[52:55], v[42:43], off offset:224
	;; [unrolled: 1-line block ×4, first 2 shown]
	v_accvgpr_write_b32 a179, v71
	v_accvgpr_write_b32 a187, v83
	;; [unrolled: 1-line block ×15, first 2 shown]
	s_waitcnt lgkmcnt(0)
	s_barrier
	s_movk_i32 s18, 0x4b
	v_cmp_gt_u16_e32 vcc, s18, v176
	s_waitcnt vmcnt(3)
	v_mul_f64 v[188:189], v[24:25], v[50:51]
	s_waitcnt vmcnt(2)
	v_mul_f64 v[184:185], v[28:29], v[54:55]
	;; [unrolled: 2-line block ×4, first 2 shown]
	v_fma_f64 v[182:183], v[36:37], v[228:229], -v[42:43]
	v_mul_f64 v[170:171], v[36:37], v[230:231]
	v_mul_f64 v[36:37], v[34:35], v[60:61]
	v_fma_f64 v[186:187], v[32:33], v[58:59], -v[36:37]
	v_mul_f64 v[32:33], v[30:31], v[54:55]
	v_fma_f64 v[190:191], v[28:29], v[52:53], -v[32:33]
	v_mul_f64 v[28:29], v[26:27], v[50:51]
	v_fmac_f64_e32 v[184:185], v[30:31], v[52:53]
	v_fma_f64 v[30:31], v[24:25], v[48:49], -v[28:29]
	v_add_f64 v[24:25], v[20:21], v[122:123]
	v_add_f64 v[24:25], v[24:25], v[124:125]
	;; [unrolled: 1-line block ×5, first 2 shown]
	v_fma_f64 v[88:89], -0.5, v[24:25], v[20:21]
	v_add_f64 v[24:25], v[120:121], -v[104:105]
	v_fmac_f64_e32 v[188:189], v[26:27], v[48:49]
	v_fma_f64 v[108:109], s[2:3], v[24:25], v[88:89]
	v_add_f64 v[26:27], v[112:113], -v[114:115]
	v_add_f64 v[28:29], v[122:123], -v[124:125]
	v_add_f64 v[32:33], v[110:111], -v[128:129]
	v_fmac_f64_e32 v[88:89], s[12:13], v[24:25]
	v_fmac_f64_e32 v[108:109], s[8:9], v[26:27]
	v_add_f64 v[28:29], v[28:29], v[32:33]
	v_fmac_f64_e32 v[88:89], s[10:11], v[26:27]
	v_fmac_f64_e32 v[108:109], s[4:5], v[28:29]
	v_fmac_f64_e32 v[88:89], s[4:5], v[28:29]
	v_add_f64 v[28:29], v[122:123], v[110:111]
	v_fmac_f64_e32 v[20:21], -0.5, v[28:29]
	v_fma_f64 v[100:101], s[12:13], v[26:27], v[20:21]
	v_fmac_f64_e32 v[20:21], s[2:3], v[26:27]
	v_fmac_f64_e32 v[100:101], s[8:9], v[24:25]
	v_fmac_f64_e32 v[20:21], s[10:11], v[24:25]
	v_add_f64 v[24:25], v[22:23], v[120:121]
	v_add_f64 v[24:25], v[24:25], v[112:113]
	v_add_f64 v[24:25], v[24:25], v[114:115]
	v_add_f64 v[28:29], v[124:125], -v[122:123]
	v_add_f64 v[32:33], v[128:129], -v[110:111]
	v_add_f64 v[118:119], v[24:25], v[104:105]
	v_add_f64 v[24:25], v[112:113], v[114:115]
	v_add_f64 v[28:29], v[28:29], v[32:33]
	v_fma_f64 v[90:91], -0.5, v[24:25], v[22:23]
	v_add_f64 v[24:25], v[122:123], -v[110:111]
	v_fmac_f64_e32 v[100:101], s[4:5], v[28:29]
	v_fmac_f64_e32 v[20:21], s[4:5], v[28:29]
	v_fma_f64 v[110:111], s[12:13], v[24:25], v[90:91]
	v_add_f64 v[26:27], v[124:125], -v[128:129]
	v_add_f64 v[28:29], v[120:121], -v[112:113]
	v_add_f64 v[32:33], v[104:105], -v[114:115]
	v_fmac_f64_e32 v[90:91], s[2:3], v[24:25]
	v_fmac_f64_e32 v[110:111], s[10:11], v[26:27]
	v_add_f64 v[28:29], v[28:29], v[32:33]
	v_fmac_f64_e32 v[90:91], s[8:9], v[26:27]
	v_fmac_f64_e32 v[110:111], s[4:5], v[28:29]
	v_fmac_f64_e32 v[90:91], s[4:5], v[28:29]
	v_add_f64 v[28:29], v[120:121], v[104:105]
	v_fmac_f64_e32 v[22:23], -0.5, v[28:29]
	v_fma_f64 v[102:103], s[2:3], v[26:27], v[22:23]
	v_fmac_f64_e32 v[22:23], s[12:13], v[26:27]
	v_fmac_f64_e32 v[102:103], s[10:11], v[24:25]
	v_fmac_f64_e32 v[22:23], s[8:9], v[24:25]
	v_add_f64 v[24:25], v[16:17], v[106:107]
	v_add_f64 v[24:25], v[24:25], v[146:147]
	v_add_f64 v[24:25], v[24:25], v[98:99]
	v_add_f64 v[28:29], v[112:113], -v[120:121]
	v_add_f64 v[32:33], v[114:115], -v[104:105]
	v_add_f64 v[112:113], v[24:25], v[134:135]
	v_add_f64 v[24:25], v[146:147], v[98:99]
	v_add_f64 v[28:29], v[28:29], v[32:33]
	v_fma_f64 v[84:85], -0.5, v[24:25], v[16:17]
	v_add_f64 v[24:25], v[126:127], -v[94:95]
	v_fmac_f64_e32 v[102:103], s[4:5], v[28:29]
	;; [unrolled: 28-line block ×5, first 2 shown]
	v_fmac_f64_e32 v[12:13], s[4:5], v[28:29]
	v_fma_f64 v[82:83], s[12:13], v[24:25], v[70:71]
	v_add_f64 v[26:27], v[154:155], -v[158:159]
	v_add_f64 v[28:29], v[148:149], -v[132:133]
	;; [unrolled: 1-line block ×3, first 2 shown]
	v_fmac_f64_e32 v[70:71], s[2:3], v[24:25]
	v_fmac_f64_e32 v[82:83], s[10:11], v[26:27]
	v_add_f64 v[28:29], v[28:29], v[32:33]
	v_fmac_f64_e32 v[70:71], s[8:9], v[26:27]
	v_fmac_f64_e32 v[82:83], s[4:5], v[28:29]
	;; [unrolled: 1-line block ×3, first 2 shown]
	v_add_f64 v[28:29], v[148:149], v[72:73]
	v_fmac_f64_e32 v[14:15], -0.5, v[28:29]
	v_fma_f64 v[78:79], s[2:3], v[26:27], v[14:15]
	v_fmac_f64_e32 v[14:15], s[12:13], v[26:27]
	v_fmac_f64_e32 v[78:79], s[10:11], v[24:25]
	;; [unrolled: 1-line block ×3, first 2 shown]
	v_add_f64 v[24:25], v[8:9], v[160:161]
	v_add_f64 v[24:25], v[24:25], v[164:165]
	;; [unrolled: 1-line block ×3, first 2 shown]
	v_accvgpr_write_b32 a167, v55
	v_add_f64 v[28:29], v[132:133], -v[148:149]
	v_add_f64 v[32:33], v[152:153], -v[72:73]
	v_add_f64 v[72:73], v[24:25], v[62:63]
	v_add_f64 v[24:25], v[164:165], v[166:167]
	v_accvgpr_write_b32 a166, v54
	v_accvgpr_write_b32 a165, v53
	;; [unrolled: 1-line block ×3, first 2 shown]
	v_add_f64 v[28:29], v[28:29], v[32:33]
	v_fma_f64 v[52:53], -0.5, v[24:25], v[8:9]
	v_add_f64 v[24:25], v[156:157], -v[56:57]
	v_fmac_f64_e32 v[78:79], s[4:5], v[28:29]
	v_fmac_f64_e32 v[14:15], s[4:5], v[28:29]
	v_fma_f64 v[64:65], s[2:3], v[24:25], v[52:53]
	v_add_f64 v[26:27], v[136:137], -v[162:163]
	v_add_f64 v[28:29], v[160:161], -v[164:165]
	v_add_f64 v[32:33], v[62:63], -v[166:167]
	v_fmac_f64_e32 v[52:53], s[12:13], v[24:25]
	v_fmac_f64_e32 v[64:65], s[8:9], v[26:27]
	v_add_f64 v[28:29], v[28:29], v[32:33]
	v_fmac_f64_e32 v[52:53], s[10:11], v[26:27]
	v_fmac_f64_e32 v[64:65], s[4:5], v[28:29]
	;; [unrolled: 1-line block ×3, first 2 shown]
	v_add_f64 v[28:29], v[160:161], v[62:63]
	v_accvgpr_write_b32 a171, v61
	v_fmac_f64_e32 v[8:9], -0.5, v[28:29]
	v_accvgpr_write_b32 a170, v60
	v_accvgpr_write_b32 a169, v59
	;; [unrolled: 1-line block ×3, first 2 shown]
	v_fma_f64 v[60:61], s[12:13], v[26:27], v[8:9]
	v_fmac_f64_e32 v[8:9], s[2:3], v[26:27]
	v_fmac_f64_e32 v[60:61], s[8:9], v[24:25]
	;; [unrolled: 1-line block ×3, first 2 shown]
	v_add_f64 v[24:25], v[10:11], v[156:157]
	v_add_f64 v[24:25], v[24:25], v[136:137]
	;; [unrolled: 1-line block ×3, first 2 shown]
	v_add_f64 v[28:29], v[164:165], -v[160:161]
	v_add_f64 v[32:33], v[166:167], -v[62:63]
	v_add_f64 v[74:75], v[24:25], v[56:57]
	v_add_f64 v[24:25], v[136:137], v[162:163]
	;; [unrolled: 1-line block ×3, first 2 shown]
	v_fma_f64 v[54:55], -0.5, v[24:25], v[10:11]
	v_add_f64 v[24:25], v[160:161], -v[62:63]
	v_fmac_f64_e32 v[60:61], s[4:5], v[28:29]
	v_fmac_f64_e32 v[8:9], s[4:5], v[28:29]
	v_fma_f64 v[66:67], s[12:13], v[24:25], v[54:55]
	v_add_f64 v[26:27], v[164:165], -v[166:167]
	v_add_f64 v[28:29], v[156:157], -v[136:137]
	;; [unrolled: 1-line block ×3, first 2 shown]
	v_fmac_f64_e32 v[54:55], s[2:3], v[24:25]
	v_fmac_f64_e32 v[66:67], s[10:11], v[26:27]
	v_add_f64 v[28:29], v[28:29], v[32:33]
	v_fmac_f64_e32 v[54:55], s[8:9], v[26:27]
	v_fmac_f64_e32 v[66:67], s[4:5], v[28:29]
	;; [unrolled: 1-line block ×3, first 2 shown]
	v_add_f64 v[28:29], v[156:157], v[56:57]
	v_fmac_f64_e32 v[10:11], -0.5, v[28:29]
	v_fma_f64 v[62:63], s[2:3], v[26:27], v[10:11]
	v_fmac_f64_e32 v[10:11], s[12:13], v[26:27]
	v_fmac_f64_e32 v[62:63], s[10:11], v[24:25]
	;; [unrolled: 1-line block ×3, first 2 shown]
	v_add_f64 v[24:25], v[4:5], v[140:141]
	v_add_f64 v[24:25], v[24:25], v[144:145]
	;; [unrolled: 1-line block ×3, first 2 shown]
	v_add_f64 v[28:29], v[136:137], -v[156:157]
	v_add_f64 v[32:33], v[162:163], -v[56:57]
	v_add_f64 v[56:57], v[24:25], v[46:47]
	v_add_f64 v[24:25], v[144:145], v[172:173]
	v_accvgpr_write_b32 a163, v51
	v_add_f64 v[28:29], v[28:29], v[32:33]
	v_fma_f64 v[36:37], -0.5, v[24:25], v[4:5]
	v_add_f64 v[24:25], v[138:139], -v[40:41]
	v_accvgpr_write_b32 a162, v50
	v_accvgpr_write_b32 a161, v49
	;; [unrolled: 1-line block ×3, first 2 shown]
	v_fmac_f64_e32 v[62:63], s[4:5], v[28:29]
	v_fmac_f64_e32 v[10:11], s[4:5], v[28:29]
	v_fma_f64 v[48:49], s[2:3], v[24:25], v[36:37]
	v_add_f64 v[26:27], v[168:169], -v[142:143]
	v_add_f64 v[28:29], v[140:141], -v[144:145]
	;; [unrolled: 1-line block ×3, first 2 shown]
	v_fmac_f64_e32 v[36:37], s[12:13], v[24:25]
	v_fmac_f64_e32 v[48:49], s[8:9], v[26:27]
	v_add_f64 v[28:29], v[28:29], v[32:33]
	v_fmac_f64_e32 v[36:37], s[10:11], v[26:27]
	v_fmac_f64_e32 v[48:49], s[4:5], v[28:29]
	;; [unrolled: 1-line block ×3, first 2 shown]
	v_add_f64 v[28:29], v[140:141], v[46:47]
	v_fmac_f64_e32 v[4:5], -0.5, v[28:29]
	v_fma_f64 v[44:45], s[12:13], v[26:27], v[4:5]
	v_fmac_f64_e32 v[4:5], s[2:3], v[26:27]
	v_fmac_f64_e32 v[44:45], s[8:9], v[24:25]
	v_fmac_f64_e32 v[4:5], s[10:11], v[24:25]
	v_add_f64 v[24:25], v[6:7], v[138:139]
	v_add_f64 v[24:25], v[24:25], v[168:169]
	;; [unrolled: 1-line block ×3, first 2 shown]
	v_fmac_f64_e32 v[178:179], v[34:35], v[58:59]
	v_add_f64 v[28:29], v[144:145], -v[140:141]
	v_add_f64 v[32:33], v[172:173], -v[46:47]
	v_add_f64 v[58:59], v[24:25], v[40:41]
	v_add_f64 v[24:25], v[168:169], v[142:143]
	v_fmac_f64_e32 v[170:171], v[38:39], v[228:229]
	v_add_f64 v[28:29], v[28:29], v[32:33]
	v_fma_f64 v[38:39], -0.5, v[24:25], v[6:7]
	v_add_f64 v[24:25], v[140:141], -v[46:47]
	v_fmac_f64_e32 v[44:45], s[4:5], v[28:29]
	v_fmac_f64_e32 v[4:5], s[4:5], v[28:29]
	v_fma_f64 v[50:51], s[12:13], v[24:25], v[38:39]
	v_add_f64 v[26:27], v[144:145], -v[172:173]
	v_add_f64 v[28:29], v[138:139], -v[168:169]
	;; [unrolled: 1-line block ×3, first 2 shown]
	v_fmac_f64_e32 v[38:39], s[2:3], v[24:25]
	v_fmac_f64_e32 v[50:51], s[10:11], v[26:27]
	v_add_f64 v[28:29], v[28:29], v[32:33]
	v_fmac_f64_e32 v[38:39], s[8:9], v[26:27]
	v_fmac_f64_e32 v[50:51], s[4:5], v[28:29]
	;; [unrolled: 1-line block ×3, first 2 shown]
	v_add_f64 v[28:29], v[138:139], v[40:41]
	v_fmac_f64_e32 v[6:7], -0.5, v[28:29]
	v_fma_f64 v[46:47], s[2:3], v[26:27], v[6:7]
	v_fmac_f64_e32 v[6:7], s[12:13], v[26:27]
	v_fmac_f64_e32 v[46:47], s[10:11], v[24:25]
	v_fmac_f64_e32 v[6:7], s[8:9], v[24:25]
	v_add_f64 v[24:25], v[0:1], v[182:183]
	v_add_f64 v[24:25], v[24:25], v[186:187]
	;; [unrolled: 1-line block ×3, first 2 shown]
	v_add_f64 v[28:29], v[168:169], -v[138:139]
	v_add_f64 v[32:33], v[142:143], -v[40:41]
	v_add_f64 v[40:41], v[24:25], v[30:31]
	v_add_f64 v[24:25], v[186:187], v[190:191]
	;; [unrolled: 1-line block ×3, first 2 shown]
	v_fma_f64 v[24:25], -0.5, v[24:25], v[0:1]
	v_add_f64 v[26:27], v[170:171], -v[188:189]
	v_fmac_f64_e32 v[46:47], s[4:5], v[28:29]
	v_fmac_f64_e32 v[6:7], s[4:5], v[28:29]
	v_fma_f64 v[32:33], s[2:3], v[26:27], v[24:25]
	v_add_f64 v[34:35], v[178:179], -v[184:185]
	v_add_f64 v[28:29], v[182:183], -v[186:187]
	;; [unrolled: 1-line block ×3, first 2 shown]
	v_fmac_f64_e32 v[24:25], s[12:13], v[26:27]
	v_fmac_f64_e32 v[32:33], s[8:9], v[34:35]
	v_add_f64 v[28:29], v[28:29], v[42:43]
	v_fmac_f64_e32 v[24:25], s[10:11], v[34:35]
	v_fmac_f64_e32 v[32:33], s[4:5], v[28:29]
	;; [unrolled: 1-line block ×3, first 2 shown]
	v_add_f64 v[28:29], v[182:183], v[30:31]
	v_fmac_f64_e32 v[0:1], -0.5, v[28:29]
	v_fma_f64 v[28:29], s[12:13], v[34:35], v[0:1]
	v_fmac_f64_e32 v[0:1], s[2:3], v[34:35]
	v_fmac_f64_e32 v[28:29], s[8:9], v[26:27]
	;; [unrolled: 1-line block ×3, first 2 shown]
	v_add_f64 v[26:27], v[2:3], v[170:171]
	v_add_f64 v[42:43], v[186:187], -v[182:183]
	v_add_f64 v[120:121], v[190:191], -v[30:31]
	v_add_f64 v[26:27], v[26:27], v[178:179]
	v_add_f64 v[42:43], v[42:43], v[120:121]
	;; [unrolled: 1-line block ×3, first 2 shown]
	v_fmac_f64_e32 v[28:29], s[4:5], v[42:43]
	v_fmac_f64_e32 v[0:1], s[4:5], v[42:43]
	v_add_f64 v[42:43], v[26:27], v[188:189]
	v_add_f64 v[26:27], v[178:179], v[184:185]
	v_fma_f64 v[26:27], -0.5, v[26:27], v[2:3]
	v_add_f64 v[120:121], v[182:183], -v[30:31]
	v_fma_f64 v[34:35], s[12:13], v[120:121], v[26:27]
	v_add_f64 v[122:123], v[186:187], -v[190:191]
	v_add_f64 v[30:31], v[170:171], -v[178:179]
	;; [unrolled: 1-line block ×3, first 2 shown]
	v_fmac_f64_e32 v[26:27], s[2:3], v[120:121]
	v_fmac_f64_e32 v[34:35], s[10:11], v[122:123]
	v_add_f64 v[30:31], v[30:31], v[124:125]
	v_fmac_f64_e32 v[26:27], s[8:9], v[122:123]
	v_fmac_f64_e32 v[34:35], s[4:5], v[30:31]
	;; [unrolled: 1-line block ×3, first 2 shown]
	v_add_f64 v[30:31], v[170:171], v[188:189]
	v_fmac_f64_e32 v[2:3], -0.5, v[30:31]
	v_fma_f64 v[30:31], s[2:3], v[122:123], v[2:3]
	v_fmac_f64_e32 v[2:3], s[12:13], v[122:123]
	v_fmac_f64_e32 v[30:31], s[10:11], v[120:121]
	;; [unrolled: 1-line block ×3, first 2 shown]
	v_mul_u32_u24_e32 v120, 0x4b, v203
	v_add_lshl_u32 v120, v120, v204, 4
	ds_write_b128 v120, v[116:119]
	scratch_store_dword off, v120, off offset:264 ; 4-byte Folded Spill
	ds_write_b128 v120, v[108:111] offset:240
	ds_write_b128 v120, v[100:103] offset:480
	;; [unrolled: 1-line block ×4, first 2 shown]
	v_mul_u32_u24_e32 v20, 0x4b, v201
	v_add_lshl_u32 v20, v20, v202, 4
	ds_write_b128 v20, v[112:115]
	scratch_store_dword off, v20, off offset:300 ; 4-byte Folded Spill
	ds_write_b128 v20, v[104:107] offset:240
	ds_write_b128 v20, v[96:99] offset:480
	;; [unrolled: 1-line block ×4, first 2 shown]
	v_mad_legacy_u16 v16, v181, s18, v199
	v_lshlrev_b32_e32 v181, 4, v16
	ds_write_b128 v181, v[92:95]
	ds_write_b128 v181, v[80:83] offset:240
	ds_write_b128 v181, v[76:79] offset:480
	;; [unrolled: 1-line block ×4, first 2 shown]
	v_mad_legacy_u16 v12, v196, s18, v197
	v_add_f64 v[124:125], v[178:179], -v[170:171]
	v_lshlrev_b32_e32 v179, 4, v12
	ds_write_b128 v179, v[72:75]
	ds_write_b128 v179, v[64:67] offset:240
	ds_write_b128 v179, v[60:63] offset:480
	;; [unrolled: 1-line block ×4, first 2 shown]
	v_mad_legacy_u16 v8, v193, s18, v195
	v_add_u32_e32 v120, 0xffffffb5, v176
	v_add_f64 v[126:127], v[184:185], -v[188:189]
	v_lshlrev_b32_e32 v178, 4, v8
	v_cndmask_b32_e32 v136, v120, v176, vcc
	v_add_f64 v[124:125], v[124:125], v[126:127]
	ds_write_b128 v178, v[56:59]
	ds_write_b128 v178, v[48:51] offset:240
	ds_write_b128 v178, v[44:47] offset:480
	;; [unrolled: 1-line block ×4, first 2 shown]
	v_mad_legacy_u16 v4, v177, s18, v192
	v_mul_hi_i32_i24_e32 v121, 0x90, v136
	v_mul_i32_i24_e32 v120, 0x90, v136
	v_fmac_f64_e32 v[30:31], s[4:5], v[124:125]
	v_fmac_f64_e32 v[2:3], s[4:5], v[124:125]
	v_lshlrev_b32_e32 v177, 4, v4
	v_lshl_add_u64 v[120:121], s[6:7], 0, v[120:121]
	ds_write_b128 v177, v[40:43]
	ds_write_b128 v177, v[32:35] offset:240
	ds_write_b128 v177, v[28:31] offset:480
	;; [unrolled: 1-line block ×4, first 2 shown]
	s_waitcnt lgkmcnt(0)
	s_barrier
	ds_read_b128 v[40:43], v210
	ds_read_b128 v[116:119], v210 offset:6000
	ds_read_b128 v[112:115], v210 offset:12000
	;; [unrolled: 1-line block ×29, first 2 shown]
	global_load_dwordx4 v[132:135], v[120:121], off offset:1200
	global_load_dwordx4 v[128:131], v[120:121], off offset:1184
	;; [unrolled: 1-line block ×4, first 2 shown]
	s_movk_i32 s18, 0x90
	v_cmp_lt_u16_e32 vcc, s25, v176
	s_waitcnt vmcnt(3) lgkmcnt(14)
	v_mul_f64 v[160:161], v[104:105], v[134:135]
	v_accvgpr_write_b32 a147, v135
	s_waitcnt vmcnt(1)
	v_mul_f64 v[158:159], v[112:113], v[140:141]
	s_waitcnt vmcnt(0)
	v_mul_f64 v[122:123], v[118:119], v[144:145]
	v_fma_f64 v[124:125], v[116:117], v[142:143], -v[122:123]
	v_mul_f64 v[126:127], v[116:117], v[144:145]
	v_mul_f64 v[116:117], v[114:115], v[140:141]
	v_fma_f64 v[162:163], v[112:113], v[138:139], -v[116:117]
	v_fmac_f64_e32 v[158:159], v[114:115], v[138:139]
	v_mov_b64_e32 v[114:115], v[128:129]
	v_mov_b64_e32 v[116:117], v[130:131]
	v_mul_f64 v[112:113], v[110:111], v[116:117]
	v_fma_f64 v[130:131], v[108:109], v[114:115], -v[112:113]
	v_mul_f64 v[128:129], v[108:109], v[116:117]
	v_accvgpr_write_b32 a151, v117
	v_mul_f64 v[108:109], v[106:107], v[134:135]
	v_fmac_f64_e32 v[128:129], v[110:111], v[114:115]
	v_accvgpr_write_b32 a150, v116
	v_accvgpr_write_b32 a149, v115
	;; [unrolled: 1-line block ×3, first 2 shown]
	v_fma_f64 v[164:165], v[104:105], v[132:133], -v[108:109]
	v_fmac_f64_e32 v[160:161], v[106:107], v[132:133]
	v_accvgpr_write_b32 a146, v134
	v_accvgpr_write_b32 a145, v133
	;; [unrolled: 1-line block ×3, first 2 shown]
	global_load_dwordx4 v[106:109], v[120:121], off offset:1264
	global_load_dwordx4 v[110:113], v[120:121], off offset:1248
	;; [unrolled: 1-line block ×4, first 2 shown]
	v_accvgpr_write_b32 a155, v141
	v_accvgpr_write_b32 a154, v140
	;; [unrolled: 1-line block ×4, first 2 shown]
	v_fmac_f64_e32 v[126:127], v[118:119], v[142:143]
	v_accvgpr_write_b32 a159, v145
	v_accvgpr_write_b32 a158, v144
	;; [unrolled: 1-line block ×4, first 2 shown]
	s_waitcnt vmcnt(3)
	v_mul_f64 v[168:169], v[88:89], v[108:109]
	s_waitcnt vmcnt(2)
	v_mul_f64 v[148:149], v[92:93], v[112:113]
	;; [unrolled: 2-line block ×4, first 2 shown]
	v_fma_f64 v[152:153], v[100:101], v[132:133], -v[104:105]
	v_mul_f64 v[146:147], v[100:101], v[134:135]
	v_mul_f64 v[100:101], v[98:99], v[116:117]
	v_fma_f64 v[170:171], v[96:97], v[114:115], -v[100:101]
	v_mul_f64 v[96:97], v[94:95], v[112:113]
	v_fma_f64 v[154:155], v[92:93], v[110:111], -v[96:97]
	;; [unrolled: 2-line block ×3, first 2 shown]
	v_fmac_f64_e32 v[168:169], v[90:91], v[106:107]
	global_load_dwordx4 v[90:93], v[120:121], off offset:1280
	v_fmac_f64_e32 v[146:147], v[102:103], v[132:133]
	v_fmac_f64_e32 v[166:167], v[98:99], v[114:115]
	v_fmac_f64_e32 v[148:149], v[94:95], v[110:111]
	v_accvgpr_write_b32 a68, v106
	v_accvgpr_write_b32 a69, v107
	;; [unrolled: 1-line block ×16, first 2 shown]
	s_waitcnt vmcnt(0)
	v_mul_f64 v[88:89], v[86:87], v[92:93]
	v_fma_f64 v[156:157], v[84:85], v[90:91], -v[88:89]
	v_mul_f64 v[150:151], v[84:85], v[92:93]
	v_mul_lo_u16_sdwa v84, v194, s19 dst_sel:DWORD dst_unused:UNUSED_PAD src0_sel:BYTE_0 src1_sel:DWORD
	v_lshrrev_b16_e32 v137, 14, v84
	v_mul_lo_u16_e32 v84, 0x4b, v137
	v_sub_u16_e32 v84, v194, v84
	v_and_b32_e32 v138, 0xff, v84
	v_mov_b64_e32 v[84:85], s[6:7]
	v_accvgpr_write_b32 a80, v90
	v_mad_u64_u32 v[84:85], s[18:19], v138, s18, v[84:85]
	v_fmac_f64_e32 v[150:151], v[86:87], v[90:91]
	v_accvgpr_write_b32 a81, v91
	v_accvgpr_write_b32 a82, v92
	;; [unrolled: 1-line block ×3, first 2 shown]
	global_load_dwordx4 v[88:91], v[84:85], off offset:1200
	global_load_dwordx4 v[92:95], v[84:85], off offset:1184
	;; [unrolled: 1-line block ×4, first 2 shown]
	s_mov_b32 s18, 0xb4e9
	s_mov_b32 s19, 0xbfe9e377
	s_waitcnt vmcnt(3)
	v_accvgpr_write_b32 a88, v88
	s_waitcnt vmcnt(2)
	v_accvgpr_write_b32 a64, v92
	;; [unrolled: 2-line block ×3, first 2 shown]
	s_waitcnt vmcnt(0)
	v_mul_f64 v[86:87], v[82:83], v[102:103]
	v_fma_f64 v[120:121], v[80:81], v[100:101], -v[86:87]
	v_mul_f64 v[80:81], v[80:81], v[102:103]
	v_fmac_f64_e32 v[80:81], v[82:83], v[100:101]
	v_mul_f64 v[82:83], v[78:79], v[98:99]
	v_fma_f64 v[122:123], v[76:77], v[96:97], -v[82:83]
	v_mul_f64 v[82:83], v[76:77], v[98:99]
	v_mul_f64 v[76:77], v[74:75], v[94:95]
	v_fma_f64 v[76:77], v[72:73], v[92:93], -v[76:77]
	v_mul_f64 v[72:73], v[72:73], v[94:95]
	v_fmac_f64_e32 v[72:73], v[74:75], v[92:93]
	v_mul_f64 v[74:75], v[70:71], v[90:91]
	v_accvgpr_write_b32 a48, v100
	v_fmac_f64_e32 v[82:83], v[78:79], v[96:97]
	v_fma_f64 v[78:79], v[68:69], v[88:89], -v[74:75]
	v_mul_f64 v[74:75], v[68:69], v[90:91]
	v_accvgpr_write_b32 a49, v101
	v_accvgpr_write_b32 a50, v102
	;; [unrolled: 1-line block ×9, first 2 shown]
	v_fmac_f64_e32 v[74:75], v[70:71], v[88:89]
	v_accvgpr_write_b32 a89, v89
	v_accvgpr_write_b32 a90, v90
	;; [unrolled: 1-line block ×3, first 2 shown]
	global_load_dwordx4 v[86:89], v[84:85], off offset:1264
	global_load_dwordx4 v[90:93], v[84:85], off offset:1248
	;; [unrolled: 1-line block ×4, first 2 shown]
	s_waitcnt vmcnt(3)
	v_accvgpr_write_b32 a135, v89
	v_accvgpr_write_b32 a134, v88
	;; [unrolled: 1-line block ×3, first 2 shown]
	s_waitcnt vmcnt(0)
	v_mul_f64 v[68:69], v[66:67], v[100:101]
	v_fma_f64 v[68:69], v[64:65], v[98:99], -v[68:69]
	v_mul_f64 v[64:65], v[64:65], v[100:101]
	v_fmac_f64_e32 v[64:65], v[66:67], v[98:99]
	s_waitcnt lgkmcnt(13)
	v_mul_f64 v[66:67], v[62:63], v[96:97]
	v_fma_f64 v[70:71], v[60:61], v[94:95], -v[66:67]
	v_mul_f64 v[66:67], v[60:61], v[96:97]
	s_waitcnt lgkmcnt(12)
	v_mul_f64 v[60:61], v[58:59], v[92:93]
	v_fma_f64 v[60:61], v[56:57], v[90:91], -v[60:61]
	v_mul_f64 v[56:57], v[56:57], v[92:93]
	v_fmac_f64_e32 v[56:57], v[58:59], v[90:91]
	s_waitcnt lgkmcnt(11)
	v_mul_f64 v[58:59], v[54:55], v[88:89]
	v_fmac_f64_e32 v[66:67], v[62:63], v[94:95]
	v_fma_f64 v[62:63], v[52:53], v[86:87], -v[58:59]
	v_mul_f64 v[58:59], v[52:53], v[88:89]
	v_fmac_f64_e32 v[58:59], v[54:55], v[86:87]
	v_accvgpr_write_b32 a132, v86
	global_load_dwordx4 v[84:87], v[84:85], off offset:1280
	v_accvgpr_write_b32 a115, v97
	v_accvgpr_write_b32 a127, v93
	;; [unrolled: 1-line block ×12, first 2 shown]
	s_waitcnt vmcnt(0) lgkmcnt(10)
	v_mul_f64 v[52:53], v[50:51], v[86:87]
	v_fma_f64 v[52:53], v[48:49], v[84:85], -v[52:53]
	v_mul_f64 v[48:49], v[48:49], v[86:87]
	v_fmac_f64_e32 v[48:49], v[50:51], v[84:85]
	v_mul_u32_u24_sdwa v50, v198, s18 dst_sel:DWORD dst_unused:UNUSED_PAD src0_sel:WORD_0 src1_sel:DWORD
	v_sub_u16_sdwa v51, v198, v50 dst_sel:DWORD dst_unused:UNUSED_PAD src0_sel:DWORD src1_sel:WORD_1
	v_lshrrev_b16_e32 v51, 1, v51
	v_add_u16_sdwa v50, v51, v50 dst_sel:DWORD dst_unused:UNUSED_PAD src0_sel:DWORD src1_sel:WORD_1
	v_lshrrev_b16_e32 v139, 6, v50
	v_mul_lo_u16_e32 v50, 0x4b, v139
	v_sub_u16_e32 v140, v198, v50
	v_mul_lo_u16_e32 v50, 0x90, v140
	v_mov_b32_e32 v51, v211
	v_accvgpr_write_b32 a143, v87
	v_lshl_add_u64 v[50:51], s[6:7], 0, v[50:51]
	v_accvgpr_write_b32 a142, v86
	v_accvgpr_write_b32 a141, v85
	;; [unrolled: 1-line block ×3, first 2 shown]
	global_load_dwordx4 v[86:89], v[50:51], off offset:1200
	global_load_dwordx4 v[90:93], v[50:51], off offset:1184
	;; [unrolled: 1-line block ×4, first 2 shown]
	s_mov_b32 s18, s22
	s_waitcnt vmcnt(3)
	v_accvgpr_write_b32 a103, v89
	v_accvgpr_write_b32 a102, v88
	;; [unrolled: 1-line block ×3, first 2 shown]
	s_waitcnt vmcnt(0) lgkmcnt(8)
	v_mul_f64 v[54:55], v[46:47], v[106:107]
	v_fma_f64 v[98:99], v[44:45], v[104:105], -v[54:55]
	v_mul_f64 v[102:103], v[44:45], v[106:107]
	s_waitcnt lgkmcnt(7)
	v_mul_f64 v[44:45], v[38:39], v[96:97]
	v_fmac_f64_e32 v[102:103], v[46:47], v[104:105]
	v_fma_f64 v[112:113], v[36:37], v[94:95], -v[44:45]
	v_mov_b64_e32 v[44:45], v[90:91]
	v_accvgpr_write_b32 a60, v104
	v_mov_b64_e32 v[46:47], v[92:93]
	v_accvgpr_write_b32 a61, v105
	v_accvgpr_write_b32 a62, v106
	;; [unrolled: 1-line block ×3, first 2 shown]
	v_mul_f64 v[104:105], v[36:37], v[96:97]
	s_waitcnt lgkmcnt(6)
	v_mul_f64 v[36:37], v[34:35], v[46:47]
	v_fma_f64 v[92:93], v[32:33], v[44:45], -v[36:37]
	v_mul_f64 v[84:85], v[32:33], v[46:47]
	v_accvgpr_write_b32 a99, v47
	s_waitcnt lgkmcnt(5)
	v_mul_f64 v[32:33], v[30:31], v[88:89]
	v_mul_f64 v[106:107], v[28:29], v[88:89]
	v_fmac_f64_e32 v[84:85], v[34:35], v[44:45]
	v_accvgpr_write_b32 a98, v46
	v_accvgpr_write_b32 a97, v45
	;; [unrolled: 1-line block ×3, first 2 shown]
	v_fma_f64 v[114:115], v[28:29], v[86:87], -v[32:33]
	v_fmac_f64_e32 v[106:107], v[30:31], v[86:87]
	v_accvgpr_write_b32 a100, v86
	global_load_dwordx4 v[30:33], v[50:51], off offset:1264
	global_load_dwordx4 v[34:37], v[50:51], off offset:1248
	;; [unrolled: 1-line block ×4, first 2 shown]
	v_accvgpr_write_b32 a72, v94
	v_fmac_f64_e32 v[104:105], v[38:39], v[94:95]
	v_accvgpr_write_b32 a73, v95
	v_accvgpr_write_b32 a74, v96
	;; [unrolled: 1-line block ×3, first 2 shown]
	s_waitcnt vmcnt(3) lgkmcnt(1)
	v_mul_f64 v[110:111], v[12:13], v[32:33]
	v_fmac_f64_e32 v[110:111], v[14:15], v[30:31]
	s_waitcnt vmcnt(1)
	v_mul_f64 v[108:109], v[20:21], v[46:47]
	s_waitcnt vmcnt(0)
	v_mul_f64 v[28:29], v[26:27], v[90:91]
	v_fma_f64 v[94:95], v[24:25], v[88:89], -v[28:29]
	v_mul_f64 v[86:87], v[24:25], v[90:91]
	v_mul_f64 v[24:25], v[22:23], v[46:47]
	v_accvgpr_write_b32 a95, v91
	v_fma_f64 v[116:117], v[20:21], v[44:45], -v[24:25]
	v_mul_f64 v[20:21], v[18:19], v[36:37]
	v_fmac_f64_e32 v[86:87], v[26:27], v[88:89]
	v_accvgpr_write_b32 a94, v90
	v_accvgpr_write_b32 a93, v89
	;; [unrolled: 1-line block ×3, first 2 shown]
	v_fma_f64 v[96:97], v[16:17], v[34:35], -v[20:21]
	v_mul_f64 v[88:89], v[16:17], v[36:37]
	v_mul_f64 v[16:17], v[14:15], v[32:33]
	v_fma_f64 v[118:119], v[12:13], v[30:31], -v[16:17]
	global_load_dwordx4 v[14:17], v[50:51], off offset:1280
	v_accvgpr_write_b32 a131, v33
	v_accvgpr_write_b32 a130, v32
	;; [unrolled: 1-line block ×5, first 2 shown]
	v_fmac_f64_e32 v[88:89], v[18:19], v[34:35]
	v_accvgpr_write_b32 a122, v36
	v_accvgpr_write_b32 a121, v35
	v_accvgpr_write_b32 a120, v34
	v_accvgpr_write_b32 a111, v47
	v_accvgpr_write_b32 a110, v46
	v_accvgpr_write_b32 a109, v45
	v_accvgpr_write_b32 a108, v44
	v_fmac_f64_e32 v[108:109], v[22:23], v[44:45]
	v_add_f64 v[18:19], v[150:151], -v[148:149]
	s_waitcnt lgkmcnt(0)
	s_barrier
	s_waitcnt vmcnt(0)
	v_mul_f64 v[12:13], v[10:11], v[16:17]
	v_fma_f64 v[100:101], v[8:9], v[14:15], -v[12:13]
	v_mul_f64 v[90:91], v[8:9], v[16:17]
	v_add_f64 v[8:9], v[40:41], v[162:163]
	v_add_f64 v[8:9], v[8:9], v[164:165]
	;; [unrolled: 1-line block ×5, first 2 shown]
	v_accvgpr_write_b32 a139, v17
	v_fma_f64 v[30:31], -0.5, v[8:9], v[40:41]
	v_add_f64 v[8:9], v[158:159], -v[168:169]
	v_fmac_f64_e32 v[90:91], v[10:11], v[14:15]
	v_accvgpr_write_b32 a138, v16
	v_accvgpr_write_b32 a137, v15
	;; [unrolled: 1-line block ×3, first 2 shown]
	v_fma_f64 v[32:33], s[2:3], v[8:9], v[30:31]
	v_add_f64 v[10:11], v[160:161], -v[166:167]
	v_add_f64 v[12:13], v[162:163], -v[164:165]
	v_add_f64 v[14:15], v[172:173], -v[170:171]
	v_fmac_f64_e32 v[30:31], s[12:13], v[8:9]
	v_fmac_f64_e32 v[32:33], s[8:9], v[10:11]
	v_add_f64 v[12:13], v[12:13], v[14:15]
	v_fmac_f64_e32 v[30:31], s[10:11], v[10:11]
	v_fmac_f64_e32 v[32:33], s[4:5], v[12:13]
	v_fmac_f64_e32 v[30:31], s[4:5], v[12:13]
	v_add_f64 v[12:13], v[162:163], v[172:173]
	v_fmac_f64_e32 v[40:41], -0.5, v[12:13]
	v_fma_f64 v[38:39], s[12:13], v[10:11], v[40:41]
	v_fmac_f64_e32 v[40:41], s[2:3], v[10:11]
	v_fmac_f64_e32 v[38:39], s[8:9], v[8:9]
	v_fmac_f64_e32 v[40:41], s[10:11], v[8:9]
	v_add_f64 v[8:9], v[42:43], v[158:159]
	v_add_f64 v[8:9], v[8:9], v[160:161]
	v_add_f64 v[8:9], v[8:9], v[166:167]
	v_add_f64 v[12:13], v[164:165], -v[162:163]
	v_add_f64 v[14:15], v[170:171], -v[172:173]
	v_add_f64 v[34:35], v[8:9], v[168:169]
	v_add_f64 v[8:9], v[160:161], v[166:167]
	v_add_f64 v[12:13], v[12:13], v[14:15]
	v_fma_f64 v[50:51], -0.5, v[8:9], v[42:43]
	v_add_f64 v[8:9], v[162:163], -v[172:173]
	v_fmac_f64_e32 v[38:39], s[4:5], v[12:13]
	v_fmac_f64_e32 v[40:41], s[4:5], v[12:13]
	v_fma_f64 v[46:47], s[12:13], v[8:9], v[50:51]
	v_add_f64 v[10:11], v[164:165], -v[170:171]
	v_add_f64 v[12:13], v[158:159], -v[160:161]
	v_add_f64 v[14:15], v[168:169], -v[166:167]
	v_fmac_f64_e32 v[50:51], s[2:3], v[8:9]
	v_fmac_f64_e32 v[46:47], s[10:11], v[10:11]
	v_add_f64 v[12:13], v[12:13], v[14:15]
	v_fmac_f64_e32 v[50:51], s[8:9], v[10:11]
	v_fmac_f64_e32 v[46:47], s[4:5], v[12:13]
	v_fmac_f64_e32 v[50:51], s[4:5], v[12:13]
	v_add_f64 v[12:13], v[158:159], v[168:169]
	v_fmac_f64_e32 v[42:43], -0.5, v[12:13]
	v_fma_f64 v[54:55], s[2:3], v[10:11], v[42:43]
	v_fmac_f64_e32 v[42:43], s[12:13], v[10:11]
	v_fmac_f64_e32 v[54:55], s[10:11], v[8:9]
	v_fmac_f64_e32 v[42:43], s[8:9], v[8:9]
	v_add_f64 v[8:9], v[124:125], v[130:131]
	v_add_f64 v[8:9], v[8:9], v[152:153]
	v_add_f64 v[8:9], v[8:9], v[154:155]
	v_add_f64 v[12:13], v[160:161], -v[158:159]
	v_add_f64 v[14:15], v[166:167], -v[168:169]
	v_add_f64 v[36:37], v[8:9], v[156:157]
	v_add_f64 v[8:9], v[152:153], v[154:155]
	v_add_f64 v[12:13], v[12:13], v[14:15]
	v_fma_f64 v[22:23], -0.5, v[8:9], v[124:125]
	v_add_f64 v[8:9], v[128:129], -v[150:151]
	v_fmac_f64_e32 v[54:55], s[4:5], v[12:13]
	v_fmac_f64_e32 v[42:43], s[4:5], v[12:13]
	;; [unrolled: 28-line block ×3, first 2 shown]
	v_fma_f64 v[14:15], s[12:13], v[8:9], v[44:45]
	v_add_f64 v[12:13], v[152:153], -v[154:155]
	v_add_f64 v[16:17], v[128:129], -v[146:147]
	v_fmac_f64_e32 v[44:45], s[2:3], v[8:9]
	v_fmac_f64_e32 v[14:15], s[10:11], v[12:13]
	v_add_f64 v[16:17], v[16:17], v[18:19]
	v_fmac_f64_e32 v[44:45], s[8:9], v[12:13]
	v_fmac_f64_e32 v[14:15], s[4:5], v[16:17]
	;; [unrolled: 1-line block ×3, first 2 shown]
	v_add_f64 v[16:17], v[128:129], v[150:151]
	v_fmac_f64_e32 v[126:127], -0.5, v[16:17]
	v_fma_f64 v[130:131], s[2:3], v[12:13], v[126:127]
	v_add_f64 v[16:17], v[146:147], -v[128:129]
	v_add_f64 v[18:19], v[148:149], -v[150:151]
	v_fmac_f64_e32 v[126:127], s[12:13], v[12:13]
	v_add_f64 v[16:17], v[16:17], v[18:19]
	v_fmac_f64_e32 v[126:127], s[8:9], v[8:9]
	v_fmac_f64_e32 v[130:131], s[10:11], v[8:9]
	;; [unrolled: 1-line block ×3, first 2 shown]
	v_mul_f64 v[142:143], v[124:125], s[20:21]
	v_fmac_f64_e32 v[130:131], s[4:5], v[16:17]
	v_fmac_f64_e32 v[142:143], s[2:3], v[126:127]
	v_mul_f64 v[126:127], v[126:127], s[20:21]
	v_mul_f64 v[134:135], v[130:131], s[2:3]
	;; [unrolled: 1-line block ×3, first 2 shown]
	v_fmac_f64_e32 v[126:127], s[12:13], v[124:125]
	v_mul_f64 v[124:125], v[44:45], s[18:19]
	v_fmac_f64_e32 v[134:135], s[4:5], v[26:27]
	v_fmac_f64_e32 v[146:147], s[22:23], v[14:15]
	;; [unrolled: 1-line block ×3, first 2 shown]
	v_add_f64 v[16:17], v[28:29], v[36:37]
	v_mul_f64 v[128:129], v[14:15], s[8:9]
	v_add_f64 v[8:9], v[38:39], v[134:135]
	v_mul_f64 v[144:145], v[22:23], s[18:19]
	v_add_f64 v[18:19], v[34:35], v[132:133]
	v_add_f64 v[14:15], v[46:47], v[146:147]
	v_mul_f64 v[148:149], v[26:27], s[12:13]
	v_add_f64 v[26:27], v[42:43], v[126:127]
	v_add_f64 v[22:23], v[50:51], v[124:125]
	v_add_f64 v[36:37], v[28:29], -v[36:37]
	v_add_f64 v[28:29], v[38:39], -v[134:135]
	;; [unrolled: 1-line block ×6, first 2 shown]
	v_add_f64 v[50:51], v[4:5], v[122:123]
	v_add_f64 v[50:51], v[50:51], v[78:79]
	;; [unrolled: 1-line block ×5, first 2 shown]
	v_fmac_f64_e32 v[128:129], s[22:23], v[10:11]
	v_fmac_f64_e32 v[144:145], s[8:9], v[44:45]
	;; [unrolled: 1-line block ×3, first 2 shown]
	v_fma_f64 v[126:127], -0.5, v[50:51], v[4:5]
	v_add_f64 v[50:51], v[82:83], -v[58:59]
	v_add_f64 v[12:13], v[32:33], v[128:129]
	v_add_f64 v[24:25], v[40:41], v[142:143]
	;; [unrolled: 1-line block ×4, first 2 shown]
	v_add_f64 v[32:33], v[32:33], -v[128:129]
	v_add_f64 v[44:45], v[40:41], -v[142:143]
	;; [unrolled: 1-line block ×4, first 2 shown]
	v_fma_f64 v[128:129], s[2:3], v[50:51], v[126:127]
	v_add_f64 v[54:55], v[74:75], -v[66:67]
	v_add_f64 v[130:131], v[122:123], -v[78:79]
	;; [unrolled: 1-line block ×3, first 2 shown]
	v_fmac_f64_e32 v[126:127], s[12:13], v[50:51]
	v_fmac_f64_e32 v[128:129], s[8:9], v[54:55]
	v_add_f64 v[130:131], v[130:131], v[132:133]
	v_fmac_f64_e32 v[126:127], s[10:11], v[54:55]
	v_fmac_f64_e32 v[128:129], s[4:5], v[130:131]
	;; [unrolled: 1-line block ×3, first 2 shown]
	v_add_f64 v[130:131], v[122:123], v[62:63]
	v_fmac_f64_e32 v[4:5], -0.5, v[130:131]
	v_fma_f64 v[134:135], s[12:13], v[54:55], v[4:5]
	v_fmac_f64_e32 v[4:5], s[2:3], v[54:55]
	v_fmac_f64_e32 v[134:135], s[8:9], v[50:51]
	;; [unrolled: 1-line block ×3, first 2 shown]
	v_add_f64 v[50:51], v[6:7], v[82:83]
	v_add_f64 v[130:131], v[78:79], -v[122:123]
	v_add_f64 v[132:133], v[70:71], -v[62:63]
	v_add_f64 v[50:51], v[50:51], v[74:75]
	v_add_f64 v[130:131], v[130:131], v[132:133]
	;; [unrolled: 1-line block ×3, first 2 shown]
	v_fmac_f64_e32 v[134:135], s[4:5], v[130:131]
	v_fmac_f64_e32 v[4:5], s[4:5], v[130:131]
	v_add_f64 v[130:131], v[50:51], v[58:59]
	v_add_f64 v[50:51], v[74:75], v[66:67]
	v_fma_f64 v[132:133], -0.5, v[50:51], v[6:7]
	v_add_f64 v[50:51], v[122:123], -v[62:63]
	v_fma_f64 v[122:123], s[12:13], v[50:51], v[132:133]
	v_add_f64 v[54:55], v[78:79], -v[70:71]
	v_add_f64 v[62:63], v[82:83], -v[74:75]
	;; [unrolled: 1-line block ×3, first 2 shown]
	v_fmac_f64_e32 v[132:133], s[2:3], v[50:51]
	v_fmac_f64_e32 v[122:123], s[10:11], v[54:55]
	v_add_f64 v[62:63], v[62:63], v[70:71]
	v_fmac_f64_e32 v[132:133], s[8:9], v[54:55]
	v_fmac_f64_e32 v[122:123], s[4:5], v[62:63]
	;; [unrolled: 1-line block ×3, first 2 shown]
	v_add_f64 v[62:63], v[82:83], v[58:59]
	v_fmac_f64_e32 v[6:7], -0.5, v[62:63]
	v_fma_f64 v[70:71], s[2:3], v[54:55], v[6:7]
	v_fmac_f64_e32 v[6:7], s[12:13], v[54:55]
	v_fmac_f64_e32 v[70:71], s[10:11], v[50:51]
	;; [unrolled: 1-line block ×3, first 2 shown]
	v_add_f64 v[50:51], v[120:121], v[76:77]
	v_add_f64 v[50:51], v[50:51], v[68:69]
	v_add_f64 v[50:51], v[50:51], v[60:61]
	v_add_f64 v[62:63], v[74:75], -v[82:83]
	v_add_f64 v[58:59], v[66:67], -v[58:59]
	v_add_f64 v[74:75], v[50:51], v[52:53]
	v_add_f64 v[50:51], v[68:69], v[60:61]
	;; [unrolled: 1-line block ×3, first 2 shown]
	v_fma_f64 v[62:63], -0.5, v[50:51], v[120:121]
	v_add_f64 v[50:51], v[72:73], -v[48:49]
	v_fmac_f64_e32 v[70:71], s[4:5], v[58:59]
	v_fmac_f64_e32 v[6:7], s[4:5], v[58:59]
	v_fma_f64 v[54:55], s[2:3], v[50:51], v[62:63]
	v_add_f64 v[58:59], v[64:65], -v[56:57]
	v_add_f64 v[66:67], v[76:77], -v[68:69]
	;; [unrolled: 1-line block ×3, first 2 shown]
	v_fmac_f64_e32 v[62:63], s[12:13], v[50:51]
	v_fmac_f64_e32 v[54:55], s[8:9], v[58:59]
	v_add_f64 v[66:67], v[66:67], v[78:79]
	v_fmac_f64_e32 v[62:63], s[10:11], v[58:59]
	v_fmac_f64_e32 v[54:55], s[4:5], v[66:67]
	;; [unrolled: 1-line block ×3, first 2 shown]
	v_add_f64 v[66:67], v[76:77], v[52:53]
	v_fmac_f64_e32 v[120:121], -0.5, v[66:67]
	v_fma_f64 v[66:67], s[12:13], v[58:59], v[120:121]
	v_fmac_f64_e32 v[120:121], s[2:3], v[58:59]
	v_fmac_f64_e32 v[66:67], s[8:9], v[50:51]
	;; [unrolled: 1-line block ×3, first 2 shown]
	v_add_f64 v[50:51], v[80:81], v[72:73]
	v_add_f64 v[78:79], v[68:69], -v[76:77]
	v_add_f64 v[82:83], v[60:61], -v[52:53]
	v_add_f64 v[50:51], v[50:51], v[64:65]
	v_add_f64 v[78:79], v[78:79], v[82:83]
	;; [unrolled: 1-line block ×3, first 2 shown]
	v_fmac_f64_e32 v[66:67], s[4:5], v[78:79]
	v_fmac_f64_e32 v[120:121], s[4:5], v[78:79]
	v_add_f64 v[78:79], v[50:51], v[48:49]
	v_add_f64 v[50:51], v[64:65], v[56:57]
	v_fma_f64 v[82:83], -0.5, v[50:51], v[80:81]
	v_add_f64 v[50:51], v[76:77], -v[52:53]
	v_fma_f64 v[76:77], s[12:13], v[50:51], v[82:83]
	v_add_f64 v[52:53], v[68:69], -v[60:61]
	v_add_f64 v[58:59], v[72:73], -v[64:65]
	v_add_f64 v[60:61], v[48:49], -v[56:57]
	v_fmac_f64_e32 v[82:83], s[2:3], v[50:51]
	v_fmac_f64_e32 v[76:77], s[10:11], v[52:53]
	v_add_f64 v[58:59], v[58:59], v[60:61]
	v_fmac_f64_e32 v[82:83], s[8:9], v[52:53]
	v_fmac_f64_e32 v[76:77], s[4:5], v[58:59]
	v_fmac_f64_e32 v[82:83], s[4:5], v[58:59]
	v_add_f64 v[58:59], v[72:73], v[48:49]
	v_fmac_f64_e32 v[80:81], -0.5, v[58:59]
	v_fma_f64 v[68:69], s[2:3], v[52:53], v[80:81]
	v_add_f64 v[58:59], v[64:65], -v[72:73]
	v_add_f64 v[48:49], v[56:57], -v[48:49]
	v_fmac_f64_e32 v[80:81], s[12:13], v[52:53]
	v_add_f64 v[48:49], v[58:59], v[48:49]
	v_fmac_f64_e32 v[80:81], s[8:9], v[50:51]
	v_fmac_f64_e32 v[80:81], s[4:5], v[48:49]
	;; [unrolled: 1-line block ×3, first 2 shown]
	v_mul_f64 v[152:153], v[80:81], s[20:21]
	v_fmac_f64_e32 v[68:69], s[4:5], v[48:49]
	v_mul_f64 v[144:145], v[120:121], s[20:21]
	v_fmac_f64_e32 v[152:153], s[12:13], v[120:121]
	v_mul_f64 v[120:121], v[82:83], s[18:19]
	v_mul_f64 v[142:143], v[68:69], s[2:3]
	;; [unrolled: 1-line block ×3, first 2 shown]
	v_fmac_f64_e32 v[120:121], s[10:11], v[62:63]
	v_fmac_f64_e32 v[142:143], s[4:5], v[66:67]
	;; [unrolled: 1-line block ×3, first 2 shown]
	v_mul_f64 v[150:151], v[66:67], s[12:13]
	v_add_f64 v[66:67], v[6:7], v[152:153]
	v_add_f64 v[62:63], v[132:133], v[120:121]
	v_add_f64 v[82:83], v[6:7], -v[152:153]
	v_add_f64 v[6:7], v[132:133], -v[120:121]
	v_add_f64 v[120:121], v[0:1], v[112:113]
	v_mul_f64 v[148:149], v[54:55], s[10:11]
	v_add_f64 v[120:121], v[120:121], v[114:115]
	v_mul_f64 v[72:73], v[76:77], s[8:9]
	v_fmac_f64_e32 v[148:149], s[22:23], v[76:77]
	v_add_f64 v[120:121], v[120:121], v[116:117]
	v_add_f64 v[56:57], v[124:125], v[74:75]
	v_fmac_f64_e32 v[72:73], s[22:23], v[54:55]
	v_fmac_f64_e32 v[144:145], s[2:3], v[80:81]
	v_add_f64 v[54:55], v[122:123], v[148:149]
	v_add_f64 v[76:77], v[124:125], -v[74:75]
	v_add_f64 v[74:75], v[122:123], -v[148:149]
	v_add_f64 v[122:123], v[120:121], v[118:119]
	v_add_f64 v[120:121], v[114:115], v[116:117]
	;; [unrolled: 1-line block ×4, first 2 shown]
	v_add_f64 v[80:81], v[4:5], -v[144:145]
	v_add_f64 v[4:5], v[126:127], -v[146:147]
	v_fma_f64 v[126:127], -0.5, v[120:121], v[0:1]
	v_add_f64 v[120:121], v[104:105], -v[110:111]
	v_add_f64 v[52:53], v[128:129], v[72:73]
	v_add_f64 v[58:59], v[130:131], v[78:79]
	v_add_f64 v[72:73], v[128:129], -v[72:73]
	v_add_f64 v[78:79], v[130:131], -v[78:79]
	v_fma_f64 v[128:129], s[2:3], v[120:121], v[126:127]
	v_add_f64 v[124:125], v[106:107], -v[108:109]
	v_add_f64 v[130:131], v[112:113], -v[114:115]
	v_add_f64 v[132:133], v[118:119], -v[116:117]
	v_fmac_f64_e32 v[126:127], s[12:13], v[120:121]
	v_fmac_f64_e32 v[128:129], s[8:9], v[124:125]
	v_add_f64 v[130:131], v[130:131], v[132:133]
	v_fmac_f64_e32 v[126:127], s[10:11], v[124:125]
	v_fmac_f64_e32 v[128:129], s[4:5], v[130:131]
	;; [unrolled: 1-line block ×3, first 2 shown]
	v_add_f64 v[130:131], v[112:113], v[118:119]
	v_fmac_f64_e32 v[0:1], -0.5, v[130:131]
	v_fma_f64 v[132:133], s[12:13], v[124:125], v[0:1]
	v_fmac_f64_e32 v[0:1], s[2:3], v[124:125]
	v_fmac_f64_e32 v[132:133], s[8:9], v[120:121]
	;; [unrolled: 1-line block ×3, first 2 shown]
	v_add_f64 v[120:121], v[2:3], v[104:105]
	v_add_f64 v[48:49], v[134:135], v[142:143]
	v_fmac_f64_e32 v[150:151], s[4:5], v[68:69]
	v_add_f64 v[68:69], v[134:135], -v[142:143]
	v_add_f64 v[130:131], v[114:115], -v[112:113]
	v_add_f64 v[134:135], v[116:117], -v[118:119]
	v_add_f64 v[120:121], v[120:121], v[106:107]
	v_add_f64 v[130:131], v[130:131], v[134:135]
	;; [unrolled: 1-line block ×3, first 2 shown]
	v_fmac_f64_e32 v[132:133], s[4:5], v[130:131]
	v_fmac_f64_e32 v[0:1], s[4:5], v[130:131]
	v_add_f64 v[130:131], v[120:121], v[110:111]
	v_add_f64 v[120:121], v[106:107], v[108:109]
	v_fma_f64 v[120:121], -0.5, v[120:121], v[2:3]
	v_add_f64 v[112:113], v[112:113], -v[118:119]
	v_fma_f64 v[118:119], s[12:13], v[112:113], v[120:121]
	v_add_f64 v[114:115], v[114:115], -v[116:117]
	v_add_f64 v[116:117], v[104:105], -v[106:107]
	;; [unrolled: 1-line block ×3, first 2 shown]
	v_fmac_f64_e32 v[120:121], s[2:3], v[112:113]
	v_fmac_f64_e32 v[118:119], s[10:11], v[114:115]
	v_add_f64 v[116:117], v[116:117], v[124:125]
	v_fmac_f64_e32 v[120:121], s[8:9], v[114:115]
	v_fmac_f64_e32 v[118:119], s[4:5], v[116:117]
	;; [unrolled: 1-line block ×3, first 2 shown]
	v_add_f64 v[116:117], v[104:105], v[110:111]
	v_add_f64 v[104:105], v[106:107], -v[104:105]
	v_add_f64 v[106:107], v[108:109], -v[110:111]
	v_fmac_f64_e32 v[2:3], -0.5, v[116:117]
	v_add_f64 v[104:105], v[104:105], v[106:107]
	v_add_f64 v[106:107], v[94:95], v[96:97]
	v_fma_f64 v[134:135], s[2:3], v[114:115], v[2:3]
	v_fmac_f64_e32 v[2:3], s[12:13], v[114:115]
	v_fma_f64 v[106:107], -0.5, v[106:107], v[98:99]
	v_add_f64 v[108:109], v[84:85], -v[90:91]
	v_fmac_f64_e32 v[134:135], s[10:11], v[112:113]
	v_fmac_f64_e32 v[2:3], s[8:9], v[112:113]
	v_fma_f64 v[110:111], s[2:3], v[108:109], v[106:107]
	v_add_f64 v[112:113], v[86:87], -v[88:89]
	v_add_f64 v[114:115], v[92:93], -v[94:95]
	;; [unrolled: 1-line block ×3, first 2 shown]
	v_fmac_f64_e32 v[106:107], s[12:13], v[108:109]
	v_fmac_f64_e32 v[110:111], s[8:9], v[112:113]
	v_add_f64 v[114:115], v[114:115], v[116:117]
	v_fmac_f64_e32 v[106:107], s[10:11], v[112:113]
	v_fmac_f64_e32 v[110:111], s[4:5], v[114:115]
	;; [unrolled: 1-line block ×3, first 2 shown]
	v_add_f64 v[114:115], v[92:93], v[100:101]
	v_fmac_f64_e32 v[134:135], s[4:5], v[104:105]
	v_fmac_f64_e32 v[2:3], s[4:5], v[104:105]
	v_add_f64 v[104:105], v[98:99], v[92:93]
	v_fmac_f64_e32 v[98:99], -0.5, v[114:115]
	v_fma_f64 v[114:115], s[12:13], v[112:113], v[98:99]
	v_fmac_f64_e32 v[98:99], s[2:3], v[112:113]
	v_fmac_f64_e32 v[114:115], s[8:9], v[108:109]
	;; [unrolled: 1-line block ×3, first 2 shown]
	v_add_f64 v[108:109], v[102:103], v[84:85]
	v_add_f64 v[108:109], v[108:109], v[86:87]
	;; [unrolled: 1-line block ×7, first 2 shown]
	v_add_f64 v[116:117], v[94:95], -v[92:93]
	v_fma_f64 v[108:109], -0.5, v[108:109], v[102:103]
	v_add_f64 v[92:93], v[92:93], -v[100:101]
	v_add_f64 v[104:105], v[104:105], v[100:101]
	v_add_f64 v[124:125], v[96:97], -v[100:101]
	v_fma_f64 v[112:113], s[12:13], v[92:93], v[108:109]
	v_add_f64 v[94:95], v[94:95], -v[96:97]
	v_add_f64 v[96:97], v[84:85], -v[86:87]
	;; [unrolled: 1-line block ×3, first 2 shown]
	v_fmac_f64_e32 v[108:109], s[2:3], v[92:93]
	v_fmac_f64_e32 v[112:113], s[10:11], v[94:95]
	v_add_f64 v[96:97], v[96:97], v[100:101]
	v_fmac_f64_e32 v[108:109], s[8:9], v[94:95]
	v_fmac_f64_e32 v[112:113], s[4:5], v[96:97]
	;; [unrolled: 1-line block ×3, first 2 shown]
	v_add_f64 v[96:97], v[84:85], v[90:91]
	v_add_f64 v[116:117], v[116:117], v[124:125]
	v_fmac_f64_e32 v[102:103], -0.5, v[96:97]
	v_fmac_f64_e32 v[114:115], s[4:5], v[116:117]
	v_fmac_f64_e32 v[98:99], s[4:5], v[116:117]
	v_fma_f64 v[116:117], s[2:3], v[94:95], v[102:103]
	v_add_f64 v[84:85], v[86:87], -v[84:85]
	v_add_f64 v[86:87], v[88:89], -v[90:91]
	v_fmac_f64_e32 v[102:103], s[12:13], v[94:95]
	v_add_f64 v[84:85], v[84:85], v[86:87]
	v_fmac_f64_e32 v[102:103], s[8:9], v[92:93]
	v_fmac_f64_e32 v[102:103], s[4:5], v[84:85]
	v_mul_f64 v[144:145], v[112:113], s[8:9]
	v_fmac_f64_e32 v[144:145], s[22:23], v[110:111]
	v_mul_f64 v[110:111], v[110:111], s[10:11]
	v_mul_f64 v[154:155], v[102:103], s[20:21]
	;; [unrolled: 1-line block ×4, first 2 shown]
	v_fmac_f64_e32 v[110:111], s[22:23], v[112:113]
	v_fmac_f64_e32 v[154:155], s[12:13], v[98:99]
	v_fmac_f64_e32 v[124:125], s[10:11], v[106:107]
	v_fmac_f64_e32 v[148:149], s[2:3], v[102:103]
	v_add_f64 v[90:91], v[118:119], v[110:111]
	v_add_f64 v[102:103], v[2:3], v[154:155]
	;; [unrolled: 1-line block ×3, first 2 shown]
	v_add_f64 v[110:111], v[118:119], -v[110:111]
	v_add_f64 v[118:119], v[2:3], -v[154:155]
	;; [unrolled: 1-line block ×3, first 2 shown]
	v_mov_b32_e32 v120, 0x2ee
	v_cndmask_b32_e32 v120, 0, v120, vcc
	v_add_lshl_u32 v170, v136, v120, 4
	v_fmac_f64_e32 v[116:117], s[10:11], v[92:93]
	ds_write_b128 v170, v[16:19]
	ds_write_b128 v170, v[12:15] offset:1200
	ds_write_b128 v170, v[8:11] offset:2400
	;; [unrolled: 1-line block ×9, first 2 shown]
	v_mul_u32_u24_e32 v8, 0x2ee, v137
	v_fmac_f64_e32 v[116:117], s[4:5], v[84:85]
	v_add_lshl_u32 v154, v8, v138, 4
	v_lshlrev_b32_e32 v24, 6, v176
	v_mov_b32_e32 v25, v211
	v_add_f64 v[50:51], v[70:71], v[150:151]
	v_add_f64 v[70:71], v[70:71], -v[150:151]
	v_mul_f64 v[146:147], v[116:117], s[2:3]
	v_mul_f64 v[150:151], v[106:107], s[18:19]
	;; [unrolled: 1-line block ×3, first 2 shown]
	ds_write_b128 v154, v[56:59]
	ds_write_b128 v154, v[52:55] offset:1200
	ds_write_b128 v154, v[48:51] offset:2400
	;; [unrolled: 1-line block ×9, first 2 shown]
	v_mad_legacy_u16 v4, v139, s24, v140
	v_lshl_add_u64 v[24:25], s[6:7], 0, v[24:25]
	s_mov_b64 s[24:25], 0x2eb0
	v_fmac_f64_e32 v[146:147], s[4:5], v[114:115]
	v_fmac_f64_e32 v[150:151], s[8:9], v[108:109]
	v_fmac_f64_e32 v[152:153], s[4:5], v[116:117]
	v_lshl_add_u64 v[26:27], v[24:25], 0, s[24:25]
	v_add_co_u32_e32 v24, vcc, s26, v24
	v_add_f64 v[92:93], v[122:123], v[104:105]
	v_add_f64 v[88:89], v[128:129], v[144:145]
	;; [unrolled: 1-line block ×7, first 2 shown]
	v_add_f64 v[112:113], v[122:123], -v[104:105]
	v_add_f64 v[108:109], v[128:129], -v[144:145]
	;; [unrolled: 1-line block ×7, first 2 shown]
	v_lshlrev_b32_e32 v171, 4, v4
	v_addc_co_u32_e32 v25, vcc, 0, v25, vcc
	ds_write_b128 v171, v[92:95]
	ds_write_b128 v171, v[88:91] offset:1200
	ds_write_b128 v171, v[84:87] offset:2400
	;; [unrolled: 1-line block ×9, first 2 shown]
	s_waitcnt lgkmcnt(0)
	s_barrier
	ds_read_b128 v[0:3], v210
	ds_read_b128 v[116:119], v210 offset:12000
	ds_read_b128 v[112:115], v210 offset:24000
	;; [unrolled: 1-line block ×29, first 2 shown]
	global_load_dwordx4 v[60:63], v[24:25], off offset:3760
	global_load_dwordx4 v[34:37], v[26:27], off offset:48
	;; [unrolled: 1-line block ×3, first 2 shown]
	s_nop 0
	global_load_dwordx4 v[26:29], v[26:27], off offset:16
	s_waitcnt vmcnt(3) lgkmcnt(14)
	v_mul_f64 v[24:25], v[118:119], v[62:63]
	v_fma_f64 v[38:39], v[116:117], v[60:61], -v[24:25]
	v_mul_f64 v[120:121], v[116:117], v[62:63]
	s_waitcnt vmcnt(0)
	v_mul_f64 v[24:25], v[114:115], v[28:29]
	v_fma_f64 v[144:145], v[112:113], v[26:27], -v[24:25]
	v_mul_f64 v[112:113], v[112:113], v[28:29]
	v_mul_f64 v[24:25], v[110:111], v[42:43]
	v_fmac_f64_e32 v[112:113], v[114:115], v[26:27]
	v_fma_f64 v[142:143], v[108:109], v[40:41], -v[24:25]
	v_mul_f64 v[114:115], v[108:109], v[42:43]
	v_mul_f64 v[24:25], v[106:107], v[36:37]
	v_fmac_f64_e32 v[114:115], v[110:111], v[40:41]
	v_fma_f64 v[110:111], v[104:105], v[34:35], -v[24:25]
	v_lshlrev_b32_e32 v24, 6, v194
	v_mov_b32_e32 v25, v211
	v_accvgpr_write_b32 a39, v29
	v_lshl_add_u64 v[24:25], s[6:7], 0, v[24:25]
	v_accvgpr_write_b32 a38, v28
	v_accvgpr_write_b32 a37, v27
	;; [unrolled: 1-line block ×3, first 2 shown]
	v_lshl_add_u64 v[26:27], v[24:25], 0, s[24:25]
	v_add_co_u32_e32 v24, vcc, s26, v24
	v_accvgpr_write_b32 a44, v60
	v_mul_f64 v[104:105], v[104:105], v[36:37]
	v_accvgpr_write_b32 a28, v34
	v_addc_co_u32_e32 v25, vcc, 0, v25, vcc
	v_fmac_f64_e32 v[120:121], v[118:119], v[60:61]
	v_accvgpr_write_b32 a45, v61
	v_accvgpr_write_b32 a46, v62
	;; [unrolled: 1-line block ×3, first 2 shown]
	v_fmac_f64_e32 v[104:105], v[106:107], v[34:35]
	v_accvgpr_write_b32 a29, v35
	v_accvgpr_write_b32 a30, v36
	;; [unrolled: 1-line block ×3, first 2 shown]
	global_load_dwordx4 v[116:119], v[24:25], off offset:3760
	global_load_dwordx4 v[34:37], v[26:27], off offset:48
	;; [unrolled: 1-line block ×3, first 2 shown]
	s_nop 0
	global_load_dwordx4 v[26:29], v[26:27], off offset:16
	v_accvgpr_write_b32 a32, v40
	v_accvgpr_write_b32 a33, v41
	v_accvgpr_write_b32 a34, v42
	v_accvgpr_write_b32 a35, v43
	s_waitcnt vmcnt(3)
	v_mul_f64 v[24:25], v[102:103], v[118:119]
	v_fma_f64 v[106:107], v[100:101], v[116:117], -v[24:25]
	s_waitcnt vmcnt(1)
	v_accvgpr_write_b32 a16, v60
	s_waitcnt vmcnt(0)
	v_mul_f64 v[24:25], v[98:99], v[28:29]
	v_fma_f64 v[140:141], v[96:97], v[26:27], -v[24:25]
	v_mul_f64 v[24:25], v[94:95], v[62:63]
	v_mul_f64 v[42:43], v[96:97], v[28:29]
	v_fma_f64 v[126:127], v[92:93], v[60:61], -v[24:25]
	v_mul_f64 v[24:25], v[90:91], v[36:37]
	v_fmac_f64_e32 v[42:43], v[98:99], v[26:27]
	v_fma_f64 v[98:99], v[88:89], v[34:35], -v[24:25]
	v_lshlrev_b32_e32 v24, 6, v198
	v_mov_b32_e32 v25, v211
	v_accvgpr_write_b32 a24, v26
	v_lshl_add_u64 v[24:25], s[6:7], 0, v[24:25]
	v_accvgpr_write_b32 a25, v27
	v_accvgpr_write_b32 a26, v28
	;; [unrolled: 1-line block ×3, first 2 shown]
	v_mul_f64 v[92:93], v[92:93], v[62:63]
	v_lshl_add_u64 v[26:27], v[24:25], 0, s[24:25]
	v_add_co_u32_e32 v24, vcc, s26, v24
	v_fmac_f64_e32 v[92:93], v[94:95], v[60:61]
	v_mul_f64 v[94:95], v[88:89], v[36:37]
	v_accvgpr_write_b32 a12, v34
	v_addc_co_u32_e32 v25, vcc, 0, v25, vcc
	v_accvgpr_write_b32 a17, v61
	v_accvgpr_write_b32 a18, v62
	;; [unrolled: 1-line block ×3, first 2 shown]
	v_fmac_f64_e32 v[94:95], v[90:91], v[34:35]
	v_accvgpr_write_b32 a13, v35
	v_accvgpr_write_b32 a14, v36
	;; [unrolled: 1-line block ×3, first 2 shown]
	global_load_dwordx4 v[60:63], v[24:25], off offset:3760
	global_load_dwordx4 v[34:37], v[26:27], off offset:48
	;; [unrolled: 1-line block ×3, first 2 shown]
	s_nop 0
	global_load_dwordx4 v[26:29], v[26:27], off offset:16
	v_mul_f64 v[40:41], v[100:101], v[118:119]
	v_accvgpr_write_b32 a20, v116
	v_fmac_f64_e32 v[40:41], v[102:103], v[116:117]
	v_accvgpr_write_b32 a21, v117
	v_accvgpr_write_b32 a22, v118
	;; [unrolled: 1-line block ×3, first 2 shown]
	s_waitcnt vmcnt(3)
	v_mul_f64 v[24:25], v[86:87], v[62:63]
	v_fma_f64 v[172:173], v[84:85], v[60:61], -v[24:25]
	s_waitcnt vmcnt(1)
	v_mul_f64 v[226:227], v[76:77], v[90:91]
	s_waitcnt vmcnt(0)
	v_mul_f64 v[24:25], v[82:83], v[28:29]
	v_fma_f64 v[116:117], v[80:81], v[26:27], -v[24:25]
	v_mul_f64 v[24:25], v[78:79], v[90:91]
	v_fma_f64 v[224:225], v[76:77], v[88:89], -v[24:25]
	v_mul_f64 v[24:25], v[74:75], v[36:37]
	v_mul_f64 v[118:119], v[84:85], v[62:63]
	v_accvgpr_write_b32 a8, v60
	v_fmac_f64_e32 v[226:227], v[78:79], v[88:89]
	v_fma_f64 v[78:79], v[72:73], v[34:35], -v[24:25]
	v_lshlrev_b32_e32 v24, 6, v200
	v_mov_b32_e32 v25, v211
	v_fmac_f64_e32 v[118:119], v[86:87], v[60:61]
	v_accvgpr_write_b32 a9, v61
	v_accvgpr_write_b32 a10, v62
	;; [unrolled: 1-line block ×3, first 2 shown]
	v_mul_f64 v[60:61], v[80:81], v[28:29]
	v_accvgpr_write_b32 a43, v29
	v_lshl_add_u64 v[24:25], s[6:7], 0, v[24:25]
	v_fmac_f64_e32 v[60:61], v[82:83], v[26:27]
	v_accvgpr_write_b32 a42, v28
	v_accvgpr_write_b32 a41, v27
	;; [unrolled: 1-line block ×3, first 2 shown]
	v_lshl_add_u64 v[26:27], v[24:25], 0, s[24:25]
	v_add_co_u32_e32 v24, vcc, s26, v24
	v_accvgpr_write_b32 a0, v34
	s_nop 0
	v_addc_co_u32_e32 v25, vcc, 0, v25, vcc
	global_load_dwordx4 v[194:197], v[24:25], off offset:3760
	global_load_dwordx4 v[206:209], v[26:27], off offset:48
	;; [unrolled: 1-line block ×4, first 2 shown]
	v_mul_f64 v[72:73], v[72:73], v[36:37]
	v_accvgpr_write_b32 a1, v35
	v_accvgpr_write_b32 a2, v36
	;; [unrolled: 1-line block ×3, first 2 shown]
	v_fmac_f64_e32 v[72:73], v[74:75], v[34:35]
	v_accvgpr_write_b32 a4, v88
	v_accvgpr_write_b32 a5, v89
	;; [unrolled: 1-line block ×4, first 2 shown]
	s_waitcnt vmcnt(3) lgkmcnt(13)
	v_mul_f64 v[24:25], v[70:71], v[196:197]
	v_fma_f64 v[62:63], v[68:69], v[194:195], -v[24:25]
	v_mul_f64 v[74:75], v[68:69], v[196:197]
	s_waitcnt vmcnt(0) lgkmcnt(12)
	v_mul_f64 v[24:25], v[66:67], v[200:201]
	v_fma_f64 v[222:223], v[64:65], v[198:199], -v[24:25]
	s_waitcnt lgkmcnt(11)
	v_mul_f64 v[24:25], v[148:149], v[204:205]
	v_fma_f64 v[36:37], v[146:147], v[202:203], -v[24:25]
	s_waitcnt lgkmcnt(10)
	v_mul_f64 v[24:25], v[58:59], v[208:209]
	v_fma_f64 v[28:29], v[56:57], v[206:207], -v[24:25]
	v_lshlrev_b32_e32 v24, 6, v220
	v_mov_b32_e32 v25, v211
	v_lshl_add_u64 v[24:25], s[6:7], 0, v[24:25]
	v_lshl_add_u64 v[26:27], v[24:25], 0, s[24:25]
	v_add_co_u32_e32 v24, vcc, s26, v24
	v_mul_f64 v[64:65], v[64:65], v[200:201]
	s_nop 0
	v_addc_co_u32_e32 v25, vcc, 0, v25, vcc
	global_load_dwordx4 v[164:167], v[24:25], off offset:3760
	global_load_dwordx4 v[190:193], v[26:27], off offset:48
	;; [unrolled: 1-line block ×4, first 2 shown]
	v_fmac_f64_e32 v[64:65], v[66:67], v[198:199]
	v_mul_f64 v[66:67], v[146:147], v[204:205]
	v_fmac_f64_e32 v[66:67], v[148:149], v[202:203]
	v_mul_f64 v[56:57], v[56:57], v[208:209]
	v_fmac_f64_e32 v[56:57], v[58:59], v[206:207]
	v_add_f64 v[68:69], v[110:111], -v[142:143]
	v_fmac_f64_e32 v[74:75], v[70:71], v[194:195]
	s_waitcnt vmcnt(3) lgkmcnt(8)
	v_mul_f64 v[24:25], v[54:55], v[166:167]
	v_fma_f64 v[26:27], v[52:53], v[164:165], -v[24:25]
	s_waitcnt vmcnt(1) lgkmcnt(6)
	v_mul_f64 v[34:35], v[46:47], v[188:189]
	s_waitcnt vmcnt(0)
	v_mul_f64 v[220:221], v[48:49], v[184:185]
	v_fma_f64 v[254:255], v[44:45], v[186:187], -v[34:35]
	s_waitcnt lgkmcnt(5)
	v_mul_f64 v[34:35], v[130:131], v[192:193]
	v_mul_f64 v[24:25], v[50:51], v[184:185]
	v_fmac_f64_e32 v[220:221], v[50:51], v[182:183]
	v_fma_f64 v[50:51], v[128:129], v[190:191], -v[34:35]
	v_lshlrev_b32_e32 v34, 6, v218
	v_mov_b32_e32 v35, v211
	v_lshl_add_u64 v[34:35], s[6:7], 0, v[34:35]
	v_fma_f64 v[24:25], v[48:49], v[182:183], -v[24:25]
	v_mul_f64 v[44:45], v[44:45], v[188:189]
	v_lshl_add_u64 v[48:49], v[34:35], 0, s[24:25]
	v_add_co_u32_e32 v34, vcc, s26, v34
	v_fmac_f64_e32 v[44:45], v[46:47], v[186:187]
	v_mul_f64 v[46:47], v[128:129], v[192:193]
	v_addc_co_u32_e32 v35, vcc, 0, v35, vcc
	v_fmac_f64_e32 v[46:47], v[130:131], v[190:191]
	global_load_dwordx4 v[128:131], v[34:35], off offset:3760
	global_load_dwordx4 v[160:163], v[48:49], off offset:48
	;; [unrolled: 1-line block ×4, first 2 shown]
	v_mul_f64 v[58:59], v[52:53], v[166:167]
	v_fmac_f64_e32 v[58:59], v[54:55], v[164:165]
	v_add_f64 v[52:53], v[112:113], -v[114:115]
	v_add_f64 v[54:55], v[38:39], -v[144:145]
	v_add_f64 v[54:55], v[54:55], v[68:69]
	v_add_f64 v[68:69], v[142:143], -v[110:111]
	s_mov_b64 s[6:7], 0xea60
	s_waitcnt vmcnt(3) lgkmcnt(3)
	v_mul_f64 v[34:35], v[32:33], v[130:131]
	v_fma_f64 v[34:35], v[30:31], v[128:129], -v[34:35]
	v_mul_f64 v[218:219], v[30:31], v[130:131]
	s_waitcnt vmcnt(0) lgkmcnt(2)
	v_mul_f64 v[30:31], v[124:125], v[148:149]
	s_waitcnt lgkmcnt(1)
	v_mul_f64 v[48:49], v[138:139], v[158:159]
	v_fmac_f64_e32 v[218:219], v[32:33], v[128:129]
	v_fma_f64 v[30:31], v[122:123], v[146:147], -v[30:31]
	v_mul_f64 v[32:33], v[122:123], v[148:149]
	v_fma_f64 v[122:123], v[136:137], v[156:157], -v[48:49]
	s_waitcnt lgkmcnt(0)
	v_mul_f64 v[48:49], v[134:135], v[162:163]
	v_fma_f64 v[150:151], v[132:133], v[160:161], -v[48:49]
	v_add_f64 v[48:49], v[0:1], v[38:39]
	v_add_f64 v[48:49], v[48:49], v[144:145]
	v_mul_f64 v[136:137], v[136:137], v[158:159]
	v_add_f64 v[48:49], v[48:49], v[142:143]
	v_fmac_f64_e32 v[136:137], v[138:139], v[156:157]
	v_mul_f64 v[138:139], v[132:133], v[162:163]
	v_add_f64 v[132:133], v[48:49], v[110:111]
	v_add_f64 v[48:49], v[144:145], v[142:143]
	v_fma_f64 v[88:89], -0.5, v[48:49], v[0:1]
	v_add_f64 v[48:49], v[120:121], -v[104:105]
	v_fma_f64 v[108:109], s[2:3], v[48:49], v[88:89]
	v_fmac_f64_e32 v[88:89], s[12:13], v[48:49]
	v_fmac_f64_e32 v[108:109], s[8:9], v[52:53]
	;; [unrolled: 1-line block ×5, first 2 shown]
	v_add_f64 v[54:55], v[38:39], v[110:111]
	v_fmac_f64_e32 v[0:1], -0.5, v[54:55]
	v_fma_f64 v[100:101], s[12:13], v[52:53], v[0:1]
	v_fmac_f64_e32 v[0:1], s[2:3], v[52:53]
	v_fmac_f64_e32 v[100:101], s[8:9], v[48:49]
	;; [unrolled: 1-line block ×3, first 2 shown]
	v_add_f64 v[48:49], v[2:3], v[120:121]
	v_add_f64 v[48:49], v[48:49], v[112:113]
	v_add_f64 v[48:49], v[48:49], v[114:115]
	v_fmac_f64_e32 v[138:139], v[134:135], v[160:161]
	v_add_f64 v[54:55], v[144:145], -v[38:39]
	v_add_f64 v[134:135], v[48:49], v[104:105]
	v_add_f64 v[48:49], v[112:113], v[114:115]
	v_add_f64 v[54:55], v[54:55], v[68:69]
	v_fma_f64 v[90:91], -0.5, v[48:49], v[2:3]
	v_add_f64 v[38:39], v[38:39], -v[110:111]
	v_fmac_f64_e32 v[100:101], s[4:5], v[54:55]
	v_fmac_f64_e32 v[0:1], s[4:5], v[54:55]
	v_fma_f64 v[110:111], s[12:13], v[38:39], v[90:91]
	v_add_f64 v[48:49], v[144:145], -v[142:143]
	v_add_f64 v[52:53], v[120:121], -v[112:113]
	v_add_f64 v[54:55], v[104:105], -v[114:115]
	v_fmac_f64_e32 v[90:91], s[2:3], v[38:39]
	v_fmac_f64_e32 v[110:111], s[10:11], v[48:49]
	v_add_f64 v[52:53], v[52:53], v[54:55]
	v_fmac_f64_e32 v[90:91], s[8:9], v[48:49]
	v_fmac_f64_e32 v[110:111], s[4:5], v[52:53]
	v_fmac_f64_e32 v[90:91], s[4:5], v[52:53]
	v_add_f64 v[52:53], v[120:121], v[104:105]
	v_fmac_f64_e32 v[2:3], -0.5, v[52:53]
	v_fma_f64 v[102:103], s[2:3], v[48:49], v[2:3]
	v_fmac_f64_e32 v[2:3], s[12:13], v[48:49]
	v_fmac_f64_e32 v[102:103], s[10:11], v[38:39]
	v_fmac_f64_e32 v[2:3], s[8:9], v[38:39]
	v_add_f64 v[38:39], v[4:5], v[106:107]
	v_add_f64 v[38:39], v[38:39], v[140:141]
	v_add_f64 v[38:39], v[38:39], v[126:127]
	v_add_f64 v[52:53], v[112:113], -v[120:121]
	v_add_f64 v[54:55], v[114:115], -v[104:105]
	v_add_f64 v[112:113], v[38:39], v[98:99]
	v_add_f64 v[38:39], v[140:141], v[126:127]
	v_add_f64 v[52:53], v[52:53], v[54:55]
	v_fma_f64 v[84:85], -0.5, v[38:39], v[4:5]
	v_add_f64 v[38:39], v[40:41], -v[94:95]
	v_fmac_f64_e32 v[102:103], s[4:5], v[52:53]
	v_fmac_f64_e32 v[2:3], s[4:5], v[52:53]
	v_fma_f64 v[104:105], s[2:3], v[38:39], v[84:85]
	v_add_f64 v[48:49], v[42:43], -v[92:93]
	v_add_f64 v[52:53], v[106:107], -v[140:141]
	v_add_f64 v[54:55], v[98:99], -v[126:127]
	v_fmac_f64_e32 v[84:85], s[12:13], v[38:39]
	v_fmac_f64_e32 v[104:105], s[8:9], v[48:49]
	v_add_f64 v[52:53], v[52:53], v[54:55]
	v_fmac_f64_e32 v[84:85], s[10:11], v[48:49]
	v_fmac_f64_e32 v[104:105], s[4:5], v[52:53]
	v_fmac_f64_e32 v[84:85], s[4:5], v[52:53]
	v_add_f64 v[52:53], v[106:107], v[98:99]
	v_fmac_f64_e32 v[4:5], -0.5, v[52:53]
	v_fma_f64 v[96:97], s[12:13], v[48:49], v[4:5]
	v_fmac_f64_e32 v[4:5], s[2:3], v[48:49]
	v_fmac_f64_e32 v[96:97], s[8:9], v[38:39]
	v_fmac_f64_e32 v[4:5], s[10:11], v[38:39]
	v_add_f64 v[38:39], v[6:7], v[40:41]
	v_add_f64 v[38:39], v[38:39], v[42:43]
	v_add_f64 v[38:39], v[38:39], v[92:93]
	v_add_f64 v[52:53], v[140:141], -v[106:107]
	;; [unrolled: 28-line block ×5, first 2 shown]
	v_add_f64 v[48:49], v[226:227], -v[72:73]
	v_add_f64 v[140:141], v[38:39], v[28:29]
	v_add_f64 v[38:39], v[222:223], v[36:37]
	;; [unrolled: 1-line block ×3, first 2 shown]
	v_fma_f64 v[52:53], -0.5, v[38:39], v[12:13]
	v_add_f64 v[38:39], v[74:75], -v[56:57]
	v_fmac_f64_e32 v[32:33], v[124:125], v[146:147]
	v_fmac_f64_e32 v[78:79], s[4:5], v[42:43]
	;; [unrolled: 1-line block ×3, first 2 shown]
	v_fma_f64 v[124:125], s[2:3], v[38:39], v[52:53]
	v_add_f64 v[40:41], v[64:65], -v[66:67]
	v_add_f64 v[42:43], v[62:63], -v[222:223]
	;; [unrolled: 1-line block ×3, first 2 shown]
	v_fmac_f64_e32 v[52:53], s[12:13], v[38:39]
	v_fmac_f64_e32 v[124:125], s[8:9], v[40:41]
	v_add_f64 v[42:43], v[42:43], v[48:49]
	v_fmac_f64_e32 v[52:53], s[10:11], v[40:41]
	v_fmac_f64_e32 v[124:125], s[4:5], v[42:43]
	v_fmac_f64_e32 v[52:53], s[4:5], v[42:43]
	v_add_f64 v[42:43], v[62:63], v[28:29]
	v_fmac_f64_e32 v[12:13], -0.5, v[42:43]
	v_fma_f64 v[60:61], s[12:13], v[40:41], v[12:13]
	v_fmac_f64_e32 v[12:13], s[2:3], v[40:41]
	v_fmac_f64_e32 v[60:61], s[8:9], v[38:39]
	;; [unrolled: 1-line block ×3, first 2 shown]
	v_add_f64 v[38:39], v[14:15], v[74:75]
	v_add_f64 v[38:39], v[38:39], v[64:65]
	;; [unrolled: 1-line block ×5, first 2 shown]
	v_add_f64 v[48:49], v[36:37], -v[28:29]
	v_fma_f64 v[54:55], -0.5, v[38:39], v[14:15]
	v_add_f64 v[28:29], v[62:63], -v[28:29]
	v_fma_f64 v[126:127], s[12:13], v[28:29], v[54:55]
	v_add_f64 v[36:37], v[222:223], -v[36:37]
	v_add_f64 v[38:39], v[74:75], -v[64:65]
	;; [unrolled: 1-line block ×3, first 2 shown]
	v_fmac_f64_e32 v[54:55], s[2:3], v[28:29]
	v_fmac_f64_e32 v[126:127], s[10:11], v[36:37]
	v_add_f64 v[38:39], v[38:39], v[40:41]
	v_fmac_f64_e32 v[54:55], s[8:9], v[36:37]
	v_fmac_f64_e32 v[126:127], s[4:5], v[38:39]
	;; [unrolled: 1-line block ×3, first 2 shown]
	v_add_f64 v[38:39], v[74:75], v[56:57]
	v_fmac_f64_e32 v[14:15], -0.5, v[38:39]
	v_add_f64 v[42:43], v[222:223], -v[62:63]
	v_fma_f64 v[62:63], s[2:3], v[36:37], v[14:15]
	v_fmac_f64_e32 v[14:15], s[12:13], v[36:37]
	v_fmac_f64_e32 v[62:63], s[10:11], v[28:29]
	;; [unrolled: 1-line block ×3, first 2 shown]
	v_add_f64 v[28:29], v[16:17], v[26:27]
	v_add_f64 v[28:29], v[28:29], v[24:25]
	;; [unrolled: 1-line block ×3, first 2 shown]
	v_add_f64 v[38:39], v[64:65], -v[74:75]
	v_add_f64 v[40:41], v[66:67], -v[56:57]
	v_add_f64 v[116:117], v[28:29], v[50:51]
	v_add_f64 v[28:29], v[24:25], v[254:255]
	;; [unrolled: 1-line block ×4, first 2 shown]
	v_fma_f64 v[36:37], -0.5, v[28:29], v[16:17]
	v_add_f64 v[28:29], v[58:59], -v[46:47]
	v_fmac_f64_e32 v[60:61], s[4:5], v[42:43]
	v_fmac_f64_e32 v[12:13], s[4:5], v[42:43]
	;; [unrolled: 1-line block ×4, first 2 shown]
	v_fma_f64 v[48:49], s[2:3], v[28:29], v[36:37]
	v_add_f64 v[38:39], v[220:221], -v[44:45]
	v_add_f64 v[40:41], v[26:27], -v[24:25]
	;; [unrolled: 1-line block ×3, first 2 shown]
	v_fmac_f64_e32 v[36:37], s[12:13], v[28:29]
	v_fmac_f64_e32 v[48:49], s[8:9], v[38:39]
	v_add_f64 v[40:41], v[40:41], v[42:43]
	v_fmac_f64_e32 v[36:37], s[10:11], v[38:39]
	v_fmac_f64_e32 v[48:49], s[4:5], v[40:41]
	;; [unrolled: 1-line block ×3, first 2 shown]
	v_add_f64 v[40:41], v[26:27], v[50:51]
	v_fmac_f64_e32 v[16:17], -0.5, v[40:41]
	v_fma_f64 v[64:65], s[12:13], v[38:39], v[16:17]
	v_fmac_f64_e32 v[16:17], s[2:3], v[38:39]
	v_fmac_f64_e32 v[64:65], s[8:9], v[28:29]
	;; [unrolled: 1-line block ×3, first 2 shown]
	v_add_f64 v[28:29], v[18:19], v[58:59]
	v_add_f64 v[28:29], v[28:29], v[220:221]
	;; [unrolled: 1-line block ×3, first 2 shown]
	v_add_f64 v[40:41], v[24:25], -v[26:27]
	v_add_f64 v[42:43], v[254:255], -v[50:51]
	v_add_f64 v[118:119], v[28:29], v[46:47]
	v_add_f64 v[28:29], v[220:221], v[44:45]
	;; [unrolled: 1-line block ×3, first 2 shown]
	v_fma_f64 v[38:39], -0.5, v[28:29], v[18:19]
	v_add_f64 v[26:27], v[26:27], -v[50:51]
	v_fmac_f64_e32 v[64:65], s[4:5], v[40:41]
	v_fmac_f64_e32 v[16:17], s[4:5], v[40:41]
	v_fma_f64 v[50:51], s[12:13], v[26:27], v[38:39]
	v_add_f64 v[24:25], v[24:25], -v[254:255]
	v_add_f64 v[28:29], v[58:59], -v[220:221]
	;; [unrolled: 1-line block ×3, first 2 shown]
	v_fmac_f64_e32 v[38:39], s[2:3], v[26:27]
	v_fmac_f64_e32 v[50:51], s[10:11], v[24:25]
	v_add_f64 v[28:29], v[28:29], v[40:41]
	v_fmac_f64_e32 v[38:39], s[8:9], v[24:25]
	v_fmac_f64_e32 v[50:51], s[4:5], v[28:29]
	;; [unrolled: 1-line block ×3, first 2 shown]
	v_add_f64 v[28:29], v[58:59], v[46:47]
	v_fmac_f64_e32 v[18:19], -0.5, v[28:29]
	v_fma_f64 v[66:67], s[2:3], v[24:25], v[18:19]
	v_fmac_f64_e32 v[18:19], s[12:13], v[24:25]
	v_add_f64 v[24:25], v[20:21], v[34:35]
	v_add_f64 v[24:25], v[24:25], v[30:31]
	v_add_f64 v[28:29], v[220:221], -v[58:59]
	v_add_f64 v[40:41], v[44:45], -v[46:47]
	v_add_f64 v[24:25], v[24:25], v[122:123]
	v_add_f64 v[28:29], v[28:29], v[40:41]
	;; [unrolled: 1-line block ×4, first 2 shown]
	v_fmac_f64_e32 v[66:67], s[10:11], v[26:27]
	v_fmac_f64_e32 v[18:19], s[8:9], v[26:27]
	v_fma_f64 v[24:25], -0.5, v[24:25], v[20:21]
	v_add_f64 v[26:27], v[218:219], -v[138:139]
	v_fmac_f64_e32 v[66:67], s[4:5], v[28:29]
	v_fmac_f64_e32 v[18:19], s[4:5], v[28:29]
	v_fma_f64 v[44:45], s[2:3], v[26:27], v[24:25]
	v_add_f64 v[42:43], v[32:33], -v[136:137]
	v_add_f64 v[28:29], v[34:35], -v[30:31]
	;; [unrolled: 1-line block ×3, first 2 shown]
	v_fmac_f64_e32 v[24:25], s[12:13], v[26:27]
	v_fmac_f64_e32 v[44:45], s[8:9], v[42:43]
	v_add_f64 v[28:29], v[28:29], v[46:47]
	v_fmac_f64_e32 v[24:25], s[10:11], v[42:43]
	v_fmac_f64_e32 v[44:45], s[4:5], v[28:29]
	;; [unrolled: 1-line block ×3, first 2 shown]
	v_add_f64 v[28:29], v[34:35], v[150:151]
	v_fmac_f64_e32 v[20:21], -0.5, v[28:29]
	v_fma_f64 v[28:29], s[12:13], v[42:43], v[20:21]
	v_fmac_f64_e32 v[20:21], s[2:3], v[42:43]
	v_fmac_f64_e32 v[28:29], s[8:9], v[26:27]
	;; [unrolled: 1-line block ×3, first 2 shown]
	v_add_f64 v[26:27], v[22:23], v[218:219]
	v_add_f64 v[26:27], v[26:27], v[32:33]
	;; [unrolled: 1-line block ×3, first 2 shown]
	v_add_f64 v[46:47], v[30:31], -v[34:35]
	v_add_f64 v[56:57], v[122:123], -v[150:151]
	v_add_f64 v[42:43], v[26:27], v[138:139]
	v_add_f64 v[26:27], v[32:33], v[136:137]
	;; [unrolled: 1-line block ×3, first 2 shown]
	v_fma_f64 v[26:27], -0.5, v[26:27], v[22:23]
	v_add_f64 v[34:35], v[34:35], -v[150:151]
	v_fmac_f64_e32 v[28:29], s[4:5], v[46:47]
	v_fmac_f64_e32 v[20:21], s[4:5], v[46:47]
	v_fma_f64 v[46:47], s[12:13], v[34:35], v[26:27]
	v_add_f64 v[56:57], v[30:31], -v[122:123]
	v_add_f64 v[30:31], v[218:219], -v[32:33]
	;; [unrolled: 1-line block ×3, first 2 shown]
	v_fmac_f64_e32 v[26:27], s[2:3], v[34:35]
	v_fmac_f64_e32 v[46:47], s[10:11], v[56:57]
	v_add_f64 v[30:31], v[30:31], v[58:59]
	v_fmac_f64_e32 v[26:27], s[8:9], v[56:57]
	v_fmac_f64_e32 v[46:47], s[4:5], v[30:31]
	;; [unrolled: 1-line block ×3, first 2 shown]
	v_add_f64 v[30:31], v[218:219], v[138:139]
	v_fmac_f64_e32 v[22:23], -0.5, v[30:31]
	v_fma_f64 v[30:31], s[2:3], v[56:57], v[22:23]
	v_add_f64 v[32:33], v[32:33], -v[218:219]
	v_add_f64 v[58:59], v[136:137], -v[138:139]
	v_fmac_f64_e32 v[22:23], s[12:13], v[56:57]
	v_fmac_f64_e32 v[30:31], s[10:11], v[34:35]
	v_add_f64 v[32:33], v[32:33], v[58:59]
	v_fmac_f64_e32 v[22:23], s[8:9], v[34:35]
	v_fmac_f64_e32 v[30:31], s[4:5], v[32:33]
	v_fmac_f64_e32 v[22:23], s[4:5], v[32:33]
	ds_write_b128 v210, v[132:135]
	ds_write_b128 v210, v[108:111] offset:12000
	ds_write_b128 v210, v[100:103] offset:24000
	;; [unrolled: 1-line block ×29, first 2 shown]
	v_accvgpr_read_b32 v4, a56
	v_accvgpr_read_b32 v5, a57
	s_waitcnt lgkmcnt(0)
	s_barrier
	global_load_dwordx4 v[4:7], v[4:5], off offset:2656
	ds_read_b128 v[0:3], v210
	v_lshl_add_u64 v[14:15], v[174:175], 0, s[6:7]
	s_mov_b32 s6, 0x13000
	s_waitcnt vmcnt(0) lgkmcnt(0)
	v_mul_f64 v[8:9], v[2:3], v[6:7]
	v_fma_f64 v[8:9], v[0:1], v[4:5], -v[8:9]
	v_mul_f64 v[10:11], v[0:1], v[6:7]
	v_add_co_u32_e32 v0, vcc, s6, v174
	v_fmac_f64_e32 v[10:11], v[2:3], v[4:5]
	s_nop 0
	v_addc_co_u32_e32 v1, vcc, 0, v175, vcc
	ds_write_b128 v210, v[8:11]
	global_load_dwordx4 v[6:9], v[0:1], off offset:2176
	ds_read_b128 v[2:5], v210 offset:20000
	s_mov_b32 s6, 0x18000
	v_add_co_u32_e32 v16, vcc, s6, v174
	s_mov_b32 s6, 0x14000
	s_nop 0
	v_addc_co_u32_e32 v17, vcc, 0, v175, vcc
	v_add_co_u32_e32 v18, vcc, s6, v174
	s_mov_b32 s6, 0x19000
	s_nop 0
	v_addc_co_u32_e32 v19, vcc, 0, v175, vcc
	s_waitcnt vmcnt(0) lgkmcnt(0)
	v_mul_f64 v[10:11], v[4:5], v[8:9]
	v_mul_f64 v[12:13], v[2:3], v[8:9]
	v_fma_f64 v[10:11], v[2:3], v[6:7], -v[10:11]
	v_fmac_f64_e32 v[12:13], v[4:5], v[6:7]
	global_load_dwordx4 v[6:9], v[16:17], off offset:1696
	ds_read_b128 v[2:5], v210 offset:40000
	ds_write_b128 v210, v[10:13] offset:20000
	s_waitcnt vmcnt(0) lgkmcnt(1)
	v_mul_f64 v[10:11], v[4:5], v[8:9]
	v_mul_f64 v[12:13], v[2:3], v[8:9]
	v_fma_f64 v[10:11], v[2:3], v[6:7], -v[10:11]
	v_fmac_f64_e32 v[12:13], v[4:5], v[6:7]
	global_load_dwordx4 v[6:9], v[14:15], off offset:2000
	ds_read_b128 v[2:5], v210 offset:2000
	ds_write_b128 v210, v[10:13] offset:40000
	;; [unrolled: 8-line block ×5, first 2 shown]
	v_add_co_u32_e32 v14, vcc, s6, v174
	s_mov_b32 s6, 0x10000
	s_nop 0
	v_addc_co_u32_e32 v15, vcc, 0, v175, vcc
	v_add_co_u32_e32 v16, vcc, s6, v174
	s_mov_b32 s6, 0x15000
	s_nop 0
	v_addc_co_u32_e32 v17, vcc, 0, v175, vcc
	s_waitcnt vmcnt(0) lgkmcnt(1)
	v_mul_f64 v[10:11], v[4:5], v[8:9]
	v_mul_f64 v[12:13], v[2:3], v[8:9]
	v_fma_f64 v[10:11], v[2:3], v[6:7], -v[10:11]
	v_fmac_f64_e32 v[12:13], v[4:5], v[6:7]
	global_load_dwordx4 v[6:9], v[18:19], off offset:2080
	ds_read_b128 v[2:5], v210 offset:24000
	ds_write_b128 v210, v[10:13] offset:4000
	s_waitcnt vmcnt(0) lgkmcnt(1)
	v_mul_f64 v[10:11], v[4:5], v[8:9]
	v_mul_f64 v[12:13], v[2:3], v[8:9]
	v_fma_f64 v[10:11], v[2:3], v[6:7], -v[10:11]
	v_fmac_f64_e32 v[12:13], v[4:5], v[6:7]
	global_load_dwordx4 v[6:9], v[14:15], off offset:1600
	ds_read_b128 v[2:5], v210 offset:44000
	ds_write_b128 v210, v[10:13] offset:24000
	;; [unrolled: 8-line block ×5, first 2 shown]
	v_add_co_u32_e32 v14, vcc, s6, v174
	s_mov_b32 s6, 0x1a000
	s_nop 0
	v_addc_co_u32_e32 v15, vcc, 0, v175, vcc
	s_waitcnt vmcnt(0) lgkmcnt(1)
	v_mul_f64 v[10:11], v[4:5], v[8:9]
	v_mul_f64 v[12:13], v[2:3], v[8:9]
	v_fma_f64 v[10:11], v[2:3], v[6:7], -v[10:11]
	v_fmac_f64_e32 v[12:13], v[4:5], v[6:7]
	global_load_dwordx4 v[6:9], v[16:17], off offset:2464
	ds_read_b128 v[2:5], v210 offset:8000
	ds_write_b128 v210, v[10:13] offset:46000
	v_add_co_u32_e32 v16, vcc, s6, v174
	s_mov_b32 s6, 0x11000
	s_nop 0
	v_addc_co_u32_e32 v17, vcc, 0, v175, vcc
	v_add_co_u32_e32 v18, vcc, s6, v174
	s_mov_b32 s6, 0x16000
	s_nop 0
	v_addc_co_u32_e32 v19, vcc, 0, v175, vcc
	s_waitcnt vmcnt(0) lgkmcnt(1)
	v_mul_f64 v[10:11], v[4:5], v[8:9]
	v_mul_f64 v[12:13], v[2:3], v[8:9]
	v_fma_f64 v[10:11], v[2:3], v[6:7], -v[10:11]
	v_fmac_f64_e32 v[12:13], v[4:5], v[6:7]
	global_load_dwordx4 v[6:9], v[14:15], off offset:1984
	ds_read_b128 v[2:5], v210 offset:28000
	ds_write_b128 v210, v[10:13] offset:8000
	s_waitcnt vmcnt(0) lgkmcnt(1)
	v_mul_f64 v[10:11], v[4:5], v[8:9]
	v_mul_f64 v[12:13], v[2:3], v[8:9]
	v_fma_f64 v[10:11], v[2:3], v[6:7], -v[10:11]
	v_fmac_f64_e32 v[12:13], v[4:5], v[6:7]
	global_load_dwordx4 v[6:9], v[16:17], off offset:1504
	ds_read_b128 v[2:5], v210 offset:48000
	ds_write_b128 v210, v[10:13] offset:28000
	;; [unrolled: 8-line block ×4, first 2 shown]
	v_add_co_u32_e32 v14, vcc, s6, v174
	s_mov_b32 s6, 0x1b000
	s_nop 0
	v_addc_co_u32_e32 v15, vcc, 0, v175, vcc
	s_waitcnt vmcnt(0) lgkmcnt(1)
	v_mul_f64 v[10:11], v[4:5], v[8:9]
	v_mul_f64 v[12:13], v[2:3], v[8:9]
	v_fma_f64 v[10:11], v[2:3], v[6:7], -v[10:11]
	v_fmac_f64_e32 v[12:13], v[4:5], v[6:7]
	global_load_dwordx4 v[6:9], v[16:17], off offset:3504
	ds_read_b128 v[2:5], v210 offset:50000
	ds_write_b128 v210, v[10:13] offset:30000
	v_add_co_u32_e32 v16, vcc, s6, v174
	s_mov_b32 s6, 0x12000
	s_nop 0
	v_addc_co_u32_e32 v17, vcc, 0, v175, vcc
	s_waitcnt vmcnt(0) lgkmcnt(1)
	v_mul_f64 v[10:11], v[4:5], v[8:9]
	v_mul_f64 v[12:13], v[2:3], v[8:9]
	v_fma_f64 v[10:11], v[2:3], v[6:7], -v[10:11]
	v_fmac_f64_e32 v[12:13], v[4:5], v[6:7]
	global_load_dwordx4 v[6:9], v[18:19], off offset:2368
	ds_read_b128 v[2:5], v210 offset:12000
	ds_write_b128 v210, v[10:13] offset:50000
	;; [unrolled: 12-line block ×3, first 2 shown]
	s_waitcnt vmcnt(0) lgkmcnt(1)
	v_mul_f64 v[10:11], v[4:5], v[8:9]
	v_mul_f64 v[12:13], v[2:3], v[8:9]
	v_fma_f64 v[10:11], v[2:3], v[6:7], -v[10:11]
	v_fmac_f64_e32 v[12:13], v[4:5], v[6:7]
	global_load_dwordx4 v[6:9], v[16:17], off offset:1408
	ds_read_b128 v[2:5], v210 offset:52000
	ds_write_b128 v210, v[10:13] offset:32000
	s_waitcnt vmcnt(0) lgkmcnt(1)
	v_mul_f64 v[10:11], v[4:5], v[8:9]
	v_mul_f64 v[12:13], v[2:3], v[8:9]
	v_fma_f64 v[10:11], v[2:3], v[6:7], -v[10:11]
	v_fmac_f64_e32 v[12:13], v[4:5], v[6:7]
	global_load_dwordx4 v[6:9], v[18:19], off offset:272
	ds_read_b128 v[2:5], v210 offset:14000
	ds_write_b128 v210, v[10:13] offset:52000
	;; [unrolled: 8-line block ×4, first 2 shown]
	s_waitcnt vmcnt(0) lgkmcnt(1)
	v_mul_f64 v[10:11], v[4:5], v[8:9]
	v_mul_f64 v[12:13], v[2:3], v[8:9]
	v_fma_f64 v[10:11], v[2:3], v[6:7], -v[10:11]
	v_fmac_f64_e32 v[12:13], v[4:5], v[6:7]
	global_load_dwordx4 v[6:9], v[18:19], off offset:2272
	ds_read_b128 v[2:5], v210 offset:16000
	v_add_co_u32_e32 v18, vcc, s6, v174
	ds_write_b128 v210, v[10:13] offset:54000
	s_nop 0
	v_addc_co_u32_e32 v19, vcc, 0, v175, vcc
	s_mov_b32 s6, 0x1c000
	s_waitcnt vmcnt(0) lgkmcnt(1)
	v_mul_f64 v[10:11], v[4:5], v[8:9]
	v_mul_f64 v[12:13], v[2:3], v[8:9]
	v_fma_f64 v[10:11], v[2:3], v[6:7], -v[10:11]
	v_fmac_f64_e32 v[12:13], v[4:5], v[6:7]
	global_load_dwordx4 v[6:9], v[18:19], off offset:1792
	ds_read_b128 v[2:5], v210 offset:36000
	ds_write_b128 v210, v[10:13] offset:16000
	s_waitcnt vmcnt(0) lgkmcnt(1)
	v_mul_f64 v[12:13], v[2:3], v[8:9]
	v_mul_f64 v[10:11], v[4:5], v[8:9]
	v_fmac_f64_e32 v[12:13], v[4:5], v[6:7]
	v_add_co_u32_e32 v4, vcc, s6, v174
	v_fma_f64 v[10:11], v[2:3], v[6:7], -v[10:11]
	s_nop 0
	v_addc_co_u32_e32 v5, vcc, 0, v175, vcc
	ds_write_b128 v210, v[10:13] offset:36000
	global_load_dwordx4 v[10:13], v[4:5], off offset:1312
	ds_read_b128 v[6:9], v210 offset:56000
	s_waitcnt vmcnt(0) lgkmcnt(0)
	v_mul_f64 v[2:3], v[8:9], v[12:13]
	v_fma_f64 v[14:15], v[6:7], v[10:11], -v[2:3]
	global_load_dwordx4 v[0:3], v[0:1], off offset:176
	v_mul_f64 v[16:17], v[6:7], v[12:13]
	v_fmac_f64_e32 v[16:17], v[8:9], v[10:11]
	ds_read_b128 v[6:9], v210 offset:18000
	ds_write_b128 v210, v[14:17] offset:56000
	s_waitcnt vmcnt(0) lgkmcnt(1)
	v_mul_f64 v[10:11], v[8:9], v[2:3]
	v_mul_f64 v[12:13], v[6:7], v[2:3]
	v_fma_f64 v[10:11], v[6:7], v[0:1], -v[10:11]
	v_fmac_f64_e32 v[12:13], v[8:9], v[0:1]
	global_load_dwordx4 v[6:9], v[18:19], off offset:3792
	ds_read_b128 v[0:3], v210 offset:38000
	ds_write_b128 v210, v[10:13] offset:18000
	s_waitcnt vmcnt(0) lgkmcnt(1)
	v_mul_f64 v[10:11], v[2:3], v[8:9]
	v_mul_f64 v[12:13], v[0:1], v[8:9]
	v_fma_f64 v[10:11], v[0:1], v[6:7], -v[10:11]
	v_fmac_f64_e32 v[12:13], v[2:3], v[6:7]
	global_load_dwordx4 v[4:7], v[4:5], off offset:3312
	ds_read_b128 v[0:3], v210 offset:58000
	ds_write_b128 v210, v[10:13] offset:38000
	s_waitcnt vmcnt(0) lgkmcnt(1)
	v_mul_f64 v[8:9], v[2:3], v[6:7]
	v_mul_f64 v[10:11], v[0:1], v[6:7]
	v_fma_f64 v[8:9], v[0:1], v[4:5], -v[8:9]
	v_fmac_f64_e32 v[10:11], v[2:3], v[4:5]
	ds_write_b128 v210, v[8:11] offset:58000
	s_waitcnt lgkmcnt(0)
	s_barrier
	ds_read_b128 v[36:39], v210
	ds_read_b128 v[96:99], v210 offset:20000
	ds_read_b128 v[100:103], v210 offset:40000
	;; [unrolled: 1-line block ×29, first 2 shown]
	s_waitcnt lgkmcnt(14)
	v_add_f64 v[122:123], v[96:97], v[100:101]
	v_add_f64 v[120:121], v[36:37], v[96:97]
	v_fmac_f64_e32 v[36:37], -0.5, v[122:123]
	v_add_f64 v[122:123], v[98:99], -v[102:103]
	v_fma_f64 v[124:125], s[16:17], v[122:123], v[36:37]
	v_fmac_f64_e32 v[36:37], s[14:15], v[122:123]
	v_add_f64 v[122:123], v[38:39], v[98:99]
	v_add_f64 v[98:99], v[98:99], v[102:103]
	v_fmac_f64_e32 v[38:39], -0.5, v[98:99]
	v_add_f64 v[96:97], v[96:97], -v[100:101]
	v_fma_f64 v[126:127], s[14:15], v[96:97], v[38:39]
	v_fmac_f64_e32 v[38:39], s[16:17], v[96:97]
	v_add_f64 v[96:97], v[32:33], v[112:113]
	v_add_f64 v[120:121], v[120:121], v[100:101]
	v_add_f64 v[100:101], v[96:97], v[116:117]
	v_add_f64 v[96:97], v[112:113], v[116:117]
	v_fmac_f64_e32 v[32:33], -0.5, v[96:97]
	v_add_f64 v[98:99], v[114:115], -v[118:119]
	v_fma_f64 v[96:97], s[16:17], v[98:99], v[32:33]
	v_fmac_f64_e32 v[32:33], s[14:15], v[98:99]
	v_add_f64 v[98:99], v[34:35], v[114:115]
	v_add_f64 v[122:123], v[122:123], v[102:103]
	;; [unrolled: 8-line block ×3, first 2 shown]
	v_add_f64 v[112:113], v[88:89], v[92:93]
	v_fmac_f64_e32 v[28:29], -0.5, v[112:113]
	v_add_f64 v[114:115], v[90:91], -v[94:95]
	v_fma_f64 v[112:113], s[16:17], v[114:115], v[28:29]
	v_fmac_f64_e32 v[28:29], s[14:15], v[114:115]
	v_add_f64 v[114:115], v[30:31], v[90:91]
	v_add_f64 v[90:91], v[90:91], v[94:95]
	v_fmac_f64_e32 v[30:31], -0.5, v[90:91]
	v_add_f64 v[88:89], v[88:89], -v[92:93]
	v_add_f64 v[90:91], v[104:105], v[108:109]
	v_add_f64 v[118:119], v[114:115], v[94:95]
	v_fma_f64 v[114:115], s[14:15], v[88:89], v[30:31]
	v_fmac_f64_e32 v[30:31], s[16:17], v[88:89]
	v_add_f64 v[88:89], v[24:25], v[104:105]
	v_fmac_f64_e32 v[24:25], -0.5, v[90:91]
	v_add_f64 v[90:91], v[106:107], -v[110:111]
	v_add_f64 v[94:95], v[106:107], v[110:111]
	v_fma_f64 v[92:93], s[16:17], v[90:91], v[24:25]
	v_fmac_f64_e32 v[24:25], s[14:15], v[90:91]
	v_add_f64 v[90:91], v[26:27], v[106:107]
	v_fmac_f64_e32 v[26:27], -0.5, v[94:95]
	v_add_f64 v[104:105], v[104:105], -v[108:109]
	v_fma_f64 v[94:95], s[14:15], v[104:105], v[26:27]
	v_fmac_f64_e32 v[26:27], s[16:17], v[104:105]
	v_add_f64 v[104:105], v[20:21], v[80:81]
	v_add_f64 v[88:89], v[88:89], v[108:109]
	;; [unrolled: 1-line block ×4, first 2 shown]
	v_fmac_f64_e32 v[20:21], -0.5, v[104:105]
	v_add_f64 v[106:107], v[82:83], -v[86:87]
	v_fma_f64 v[104:105], s[16:17], v[106:107], v[20:21]
	v_fmac_f64_e32 v[20:21], s[14:15], v[106:107]
	v_add_f64 v[106:107], v[22:23], v[82:83]
	v_add_f64 v[82:83], v[82:83], v[86:87]
	v_fmac_f64_e32 v[22:23], -0.5, v[82:83]
	v_add_f64 v[80:81], v[80:81], -v[84:85]
	v_add_f64 v[90:91], v[90:91], v[110:111]
	v_add_f64 v[110:111], v[106:107], v[86:87]
	v_fma_f64 v[106:107], s[14:15], v[80:81], v[22:23]
	v_fmac_f64_e32 v[22:23], s[16:17], v[80:81]
	s_waitcnt lgkmcnt(13)
	v_add_f64 v[80:81], v[16:17], v[72:73]
	s_waitcnt lgkmcnt(12)
	v_add_f64 v[84:85], v[80:81], v[76:77]
	v_add_f64 v[80:81], v[72:73], v[76:77]
	v_fmac_f64_e32 v[16:17], -0.5, v[80:81]
	v_add_f64 v[82:83], v[74:75], -v[78:79]
	v_fma_f64 v[80:81], s[16:17], v[82:83], v[16:17]
	v_fmac_f64_e32 v[16:17], s[14:15], v[82:83]
	v_add_f64 v[82:83], v[18:19], v[74:75]
	v_add_f64 v[74:75], v[74:75], v[78:79]
	v_fmac_f64_e32 v[18:19], -0.5, v[74:75]
	v_add_f64 v[72:73], v[72:73], -v[76:77]
	v_add_f64 v[86:87], v[82:83], v[78:79]
	v_fma_f64 v[82:83], s[14:15], v[72:73], v[18:19]
	v_fmac_f64_e32 v[18:19], s[16:17], v[72:73]
	s_waitcnt lgkmcnt(10)
	v_add_f64 v[72:73], v[12:13], v[64:65]
	s_waitcnt lgkmcnt(9)
	v_add_f64 v[76:77], v[72:73], v[68:69]
	v_add_f64 v[72:73], v[64:65], v[68:69]
	v_fmac_f64_e32 v[12:13], -0.5, v[72:73]
	v_add_f64 v[74:75], v[66:67], -v[70:71]
	v_fma_f64 v[72:73], s[16:17], v[74:75], v[12:13]
	v_fmac_f64_e32 v[12:13], s[14:15], v[74:75]
	v_add_f64 v[74:75], v[14:15], v[66:67]
	v_add_f64 v[66:67], v[66:67], v[70:71]
	v_fmac_f64_e32 v[14:15], -0.5, v[66:67]
	v_add_f64 v[64:65], v[64:65], -v[68:69]
	;; [unrolled: 16-line block ×5, first 2 shown]
	v_add_f64 v[54:55], v[50:51], v[46:47]
	v_fma_f64 v[50:51], s[14:15], v[40:41], v[2:3]
	v_fmac_f64_e32 v[2:3], s[16:17], v[40:41]
	s_barrier
	ds_write_b128 v236, v[120:123]
	ds_write_b128 v236, v[124:127] offset:16
	ds_write_b128 v236, v[36:39] offset:32
	ds_write_b128 v212, v[100:103]
	ds_write_b128 v212, v[96:99] offset:16
	ds_write_b128 v212, v[32:35] offset:32
	;; [unrolled: 3-line block ×10, first 2 shown]
	s_waitcnt lgkmcnt(0)
	s_barrier
	ds_read_b128 v[20:23], v210
	ds_read_b128 v[116:119], v210 offset:12000
	ds_read_b128 v[112:115], v210 offset:24000
	;; [unrolled: 1-line block ×29, first 2 shown]
	s_waitcnt lgkmcnt(14)
	v_mul_f64 v[216:217], v[252:253], v[110:111]
	v_mul_f64 v[140:141], v[240:241], v[86:87]
	;; [unrolled: 1-line block ×3, first 2 shown]
	v_fmac_f64_e32 v[216:217], v[250:251], v[108:109]
	v_mul_f64 v[108:109], v[252:253], v[108:109]
	v_fmac_f64_e32 v[140:141], v[238:239], v[84:85]
	v_mul_f64 v[84:85], v[240:241], v[84:85]
	;; [unrolled: 2-line block ×3, first 2 shown]
	v_fma_f64 v[234:235], v[250:251], v[110:111], -v[108:109]
	v_fma_f64 v[108:109], v[238:239], v[86:87], -v[84:85]
	scratch_load_dwordx4 v[84:87], off, off offset:592 ; 16-byte Folded Reload
	v_mul_f64 v[244:245], v[248:249], v[106:107]
	v_fmac_f64_e32 v[244:245], v[246:247], v[104:105]
	v_mul_f64 v[104:105], v[248:249], v[104:105]
	v_fma_f64 v[212:213], v[246:247], v[106:107], -v[104:105]
	scratch_load_dwordx4 v[104:107], off, off offset:576 ; 16-byte Folded Reload
	v_fma_f64 v[226:227], v[232:233], v[114:115], -v[112:113]
	scratch_load_dwordx4 v[120:123], off, off offset:512 ; 16-byte Folded Reload
	s_waitcnt vmcnt(2)
	v_mul_f64 v[142:143], v[86:87], v[82:83]
	v_fmac_f64_e32 v[142:143], v[84:85], v[80:81]
	v_mul_f64 v[80:81], v[86:87], v[80:81]
	v_fma_f64 v[110:111], v[84:85], v[82:83], -v[80:81]
	scratch_load_dwordx4 v[80:83], off, off offset:608 ; 16-byte Folded Reload
	s_waitcnt vmcnt(2)
	v_mul_f64 v[172:173], v[106:107], v[102:103]
	v_fmac_f64_e32 v[172:173], v[104:105], v[100:101]
	v_mul_f64 v[100:101], v[106:107], v[100:101]
	;; [unrolled: 6-line block ×3, first 2 shown]
	v_fma_f64 v[222:223], v[120:121], v[118:119], -v[116:117]
	s_waitcnt vmcnt(1)
	v_mul_f64 v[144:145], v[82:83], v[78:79]
	v_fmac_f64_e32 v[144:145], v[80:81], v[76:77]
	v_mul_f64 v[76:77], v[82:83], v[76:77]
	v_fma_f64 v[76:77], v[80:81], v[78:79], -v[76:77]
	scratch_load_dwordx4 v[78:81], off, off offset:624 ; 16-byte Folded Reload
	s_waitcnt vmcnt(1)
	v_mul_f64 v[218:219], v[102:103], v[98:99]
	v_fmac_f64_e32 v[218:219], v[100:101], v[96:97]
	v_mul_f64 v[96:97], v[102:103], v[96:97]
	v_fma_f64 v[106:107], v[100:101], v[98:99], -v[96:97]
	scratch_load_dwordx4 v[96:99], off, off offset:544 ; 16-byte Folded Reload
	;; [unrolled: 6-line block ×4, first 2 shown]
	s_waitcnt vmcnt(1) lgkmcnt(13)
	v_mul_f64 v[74:75], v[80:81], v[70:71]
	v_fmac_f64_e32 v[74:75], v[78:79], v[68:69]
	v_mul_f64 v[68:69], v[80:81], v[68:69]
	v_fma_f64 v[80:81], v[78:79], v[70:71], -v[68:69]
	scratch_load_dwordx4 v[68:71], off, off offset:656 ; 16-byte Folded Reload
	s_waitcnt vmcnt(1)
	v_mul_f64 v[232:233], v[94:95], v[90:91]
	v_fmac_f64_e32 v[232:233], v[92:93], v[88:89]
	v_mul_f64 v[88:89], v[94:95], v[88:89]
	v_fma_f64 v[220:221], v[92:93], v[90:91], -v[88:89]
	s_waitcnt vmcnt(0) lgkmcnt(12)
	v_mul_f64 v[78:79], v[70:71], v[66:67]
	v_fmac_f64_e32 v[78:79], v[68:69], v[64:65]
	v_mul_f64 v[64:65], v[70:71], v[64:65]
	v_fma_f64 v[84:85], v[68:69], v[66:67], -v[64:65]
	scratch_load_dwordx4 v[64:67], off, off offset:672 ; 16-byte Folded Reload
	s_waitcnt vmcnt(0) lgkmcnt(11)
	v_mul_f64 v[136:137], v[66:67], v[62:63]
	v_fmac_f64_e32 v[136:137], v[64:65], v[60:61]
	v_mul_f64 v[60:61], v[66:67], v[60:61]
	v_fma_f64 v[112:113], v[64:65], v[62:63], -v[60:61]
	scratch_load_dwordx4 v[60:63], off, off offset:688 ; 16-byte Folded Reload
	;; [unrolled: 6-line block ×8, first 2 shown]
	v_add_f64 v[28:29], v[150:151], -v[144:145]
	v_add_f64 v[30:31], v[72:73], -v[76:77]
	s_waitcnt vmcnt(0) lgkmcnt(2)
	v_mul_f64 v[94:95], v[14:15], v[10:11]
	v_fmac_f64_e32 v[94:95], v[12:13], v[8:9]
	v_mul_f64 v[8:9], v[14:15], v[8:9]
	v_fma_f64 v[122:123], v[12:13], v[10:11], -v[8:9]
	scratch_load_dwordx4 v[8:11], off, off offset:800 ; 16-byte Folded Reload
	v_add_f64 v[12:13], v[232:233], -v[224:225]
	v_add_f64 v[14:15], v[220:221], -v[174:175]
	s_waitcnt lgkmcnt(0)
	s_barrier
	s_waitcnt vmcnt(0)
	v_mul_f64 v[132:133], v[10:11], v[6:7]
	v_fmac_f64_e32 v[132:133], v[8:9], v[4:5]
	v_mul_f64 v[4:5], v[10:11], v[4:5]
	v_fma_f64 v[124:125], v[8:9], v[6:7], -v[4:5]
	v_accvgpr_read_b32 v4, a204
	v_accvgpr_read_b32 v6, a206
	;; [unrolled: 1-line block ×4, first 2 shown]
	v_mul_f64 v[134:135], v[6:7], v[2:3]
	v_fmac_f64_e32 v[134:135], v[4:5], v[0:1]
	v_mul_f64 v[0:1], v[6:7], v[0:1]
	v_fma_f64 v[126:127], v[4:5], v[2:3], -v[0:1]
	v_add_f64 v[0:1], v[20:21], v[214:215]
	v_add_f64 v[0:1], v[0:1], v[236:237]
	;; [unrolled: 1-line block ×5, first 2 shown]
	v_fma_f64 v[0:1], -0.5, v[0:1], v[20:21]
	v_add_f64 v[2:3], v[222:223], -v[212:213]
	v_fma_f64 v[48:49], s[12:13], v[2:3], v[0:1]
	v_add_f64 v[4:5], v[226:227], -v[234:235]
	v_add_f64 v[6:7], v[214:215], -v[236:237]
	;; [unrolled: 1-line block ×3, first 2 shown]
	v_fmac_f64_e32 v[0:1], s[2:3], v[2:3]
	v_fmac_f64_e32 v[48:49], s[10:11], v[4:5]
	v_add_f64 v[6:7], v[6:7], v[8:9]
	v_fmac_f64_e32 v[0:1], s[8:9], v[4:5]
	v_fmac_f64_e32 v[48:49], s[4:5], v[6:7]
	;; [unrolled: 1-line block ×3, first 2 shown]
	v_add_f64 v[6:7], v[214:215], v[244:245]
	v_fmac_f64_e32 v[20:21], -0.5, v[6:7]
	v_fma_f64 v[56:57], s[2:3], v[4:5], v[20:21]
	v_fmac_f64_e32 v[20:21], s[12:13], v[4:5]
	v_fmac_f64_e32 v[56:57], s[10:11], v[2:3]
	;; [unrolled: 1-line block ×3, first 2 shown]
	v_add_f64 v[2:3], v[22:23], v[222:223]
	v_add_f64 v[2:3], v[2:3], v[226:227]
	v_add_f64 v[2:3], v[2:3], v[234:235]
	v_add_f64 v[6:7], v[236:237], -v[214:215]
	v_add_f64 v[8:9], v[216:217], -v[244:245]
	v_add_f64 v[98:99], v[2:3], v[212:213]
	v_add_f64 v[2:3], v[226:227], v[234:235]
	;; [unrolled: 1-line block ×3, first 2 shown]
	v_fma_f64 v[2:3], -0.5, v[2:3], v[22:23]
	v_add_f64 v[4:5], v[214:215], -v[244:245]
	v_fmac_f64_e32 v[56:57], s[4:5], v[6:7]
	v_fmac_f64_e32 v[20:21], s[4:5], v[6:7]
	v_fma_f64 v[50:51], s[2:3], v[4:5], v[2:3]
	v_add_f64 v[6:7], v[236:237], -v[216:217]
	v_add_f64 v[8:9], v[222:223], -v[226:227]
	;; [unrolled: 1-line block ×3, first 2 shown]
	v_fmac_f64_e32 v[2:3], s[12:13], v[4:5]
	v_fmac_f64_e32 v[50:51], s[8:9], v[6:7]
	v_add_f64 v[8:9], v[8:9], v[10:11]
	v_fmac_f64_e32 v[2:3], s[10:11], v[6:7]
	v_fmac_f64_e32 v[50:51], s[4:5], v[8:9]
	v_fmac_f64_e32 v[2:3], s[4:5], v[8:9]
	v_add_f64 v[8:9], v[222:223], v[212:213]
	v_fmac_f64_e32 v[22:23], -0.5, v[8:9]
	v_fma_f64 v[58:59], s[12:13], v[6:7], v[22:23]
	v_fmac_f64_e32 v[22:23], s[2:3], v[6:7]
	v_fmac_f64_e32 v[58:59], s[8:9], v[4:5]
	v_fmac_f64_e32 v[22:23], s[10:11], v[4:5]
	v_add_f64 v[4:5], v[16:17], v[172:173]
	v_add_f64 v[4:5], v[4:5], v[218:219]
	v_add_f64 v[4:5], v[4:5], v[224:225]
	v_add_f64 v[8:9], v[226:227], -v[222:223]
	v_add_f64 v[10:11], v[234:235], -v[212:213]
	v_add_f64 v[100:101], v[4:5], v[232:233]
	v_add_f64 v[4:5], v[218:219], v[224:225]
	v_add_f64 v[8:9], v[8:9], v[10:11]
	v_fma_f64 v[4:5], -0.5, v[4:5], v[16:17]
	v_add_f64 v[6:7], v[104:105], -v[220:221]
	v_fmac_f64_e32 v[58:59], s[4:5], v[8:9]
	v_fmac_f64_e32 v[22:23], s[4:5], v[8:9]
	v_fma_f64 v[52:53], s[12:13], v[6:7], v[4:5]
	v_add_f64 v[8:9], v[106:107], -v[174:175]
	v_add_f64 v[10:11], v[172:173], -v[218:219]
	v_fmac_f64_e32 v[4:5], s[2:3], v[6:7]
	v_fmac_f64_e32 v[52:53], s[10:11], v[8:9]
	v_add_f64 v[10:11], v[10:11], v[12:13]
	v_fmac_f64_e32 v[4:5], s[8:9], v[8:9]
	v_fmac_f64_e32 v[52:53], s[4:5], v[10:11]
	v_fmac_f64_e32 v[4:5], s[4:5], v[10:11]
	v_add_f64 v[10:11], v[172:173], v[232:233]
	v_fmac_f64_e32 v[16:17], -0.5, v[10:11]
	v_fma_f64 v[60:61], s[2:3], v[8:9], v[16:17]
	v_fmac_f64_e32 v[16:17], s[12:13], v[8:9]
	v_fmac_f64_e32 v[60:61], s[10:11], v[6:7]
	v_fmac_f64_e32 v[16:17], s[8:9], v[6:7]
	v_add_f64 v[6:7], v[18:19], v[104:105]
	v_add_f64 v[6:7], v[6:7], v[106:107]
	v_add_f64 v[6:7], v[6:7], v[174:175]
	v_add_f64 v[10:11], v[218:219], -v[172:173]
	v_add_f64 v[12:13], v[224:225], -v[232:233]
	v_add_f64 v[102:103], v[6:7], v[220:221]
	v_add_f64 v[6:7], v[106:107], v[174:175]
	v_add_f64 v[10:11], v[10:11], v[12:13]
	v_fma_f64 v[6:7], -0.5, v[6:7], v[18:19]
	v_add_f64 v[8:9], v[172:173], -v[232:233]
	v_fmac_f64_e32 v[60:61], s[4:5], v[10:11]
	v_fmac_f64_e32 v[16:17], s[4:5], v[10:11]
	v_fma_f64 v[54:55], s[2:3], v[8:9], v[6:7]
	v_add_f64 v[10:11], v[218:219], -v[224:225]
	v_add_f64 v[12:13], v[104:105], -v[106:107]
	;; [unrolled: 27-line block ×5, first 2 shown]
	v_add_f64 v[76:77], v[138:139], -v[136:137]
	v_fmac_f64_e32 v[12:13], s[2:3], v[14:15]
	v_fmac_f64_e32 v[72:73], s[10:11], v[28:29]
	v_add_f64 v[30:31], v[30:31], v[76:77]
	v_fmac_f64_e32 v[12:13], s[8:9], v[28:29]
	v_fmac_f64_e32 v[72:73], s[4:5], v[30:31]
	v_fmac_f64_e32 v[12:13], s[4:5], v[30:31]
	v_add_f64 v[30:31], v[74:75], v[138:139]
	v_fmac_f64_e32 v[32:33], -0.5, v[30:31]
	v_fma_f64 v[76:77], s[2:3], v[28:29], v[32:33]
	v_fmac_f64_e32 v[32:33], s[12:13], v[28:29]
	v_fmac_f64_e32 v[76:77], s[10:11], v[14:15]
	;; [unrolled: 1-line block ×3, first 2 shown]
	v_add_f64 v[14:15], v[34:35], v[80:81]
	v_add_f64 v[14:15], v[14:15], v[84:85]
	v_add_f64 v[30:31], v[78:79], -v[74:75]
	v_add_f64 v[110:111], v[136:137], -v[138:139]
	v_add_f64 v[14:15], v[14:15], v[112:113]
	v_add_f64 v[30:31], v[30:31], v[110:111]
	;; [unrolled: 1-line block ×4, first 2 shown]
	v_fma_f64 v[14:15], -0.5, v[14:15], v[34:35]
	v_add_f64 v[28:29], v[74:75], -v[138:139]
	v_fmac_f64_e32 v[76:77], s[4:5], v[30:31]
	v_fmac_f64_e32 v[32:33], s[4:5], v[30:31]
	v_fma_f64 v[74:75], s[2:3], v[28:29], v[14:15]
	v_add_f64 v[30:31], v[78:79], -v[136:137]
	v_add_f64 v[78:79], v[80:81], -v[84:85]
	;; [unrolled: 1-line block ×3, first 2 shown]
	v_fmac_f64_e32 v[14:15], s[12:13], v[28:29]
	v_fmac_f64_e32 v[74:75], s[8:9], v[30:31]
	v_add_f64 v[78:79], v[78:79], v[136:137]
	v_fmac_f64_e32 v[14:15], s[10:11], v[30:31]
	v_fmac_f64_e32 v[74:75], s[4:5], v[78:79]
	;; [unrolled: 1-line block ×3, first 2 shown]
	v_add_f64 v[78:79], v[80:81], v[114:115]
	v_fmac_f64_e32 v[34:35], -0.5, v[78:79]
	v_fma_f64 v[78:79], s[12:13], v[30:31], v[34:35]
	v_fmac_f64_e32 v[34:35], s[2:3], v[30:31]
	v_fmac_f64_e32 v[78:79], s[8:9], v[28:29]
	;; [unrolled: 1-line block ×3, first 2 shown]
	v_add_f64 v[28:29], v[40:41], v[82:83]
	v_add_f64 v[28:29], v[28:29], v[86:87]
	;; [unrolled: 1-line block ×3, first 2 shown]
	v_add_f64 v[80:81], v[84:85], -v[80:81]
	v_add_f64 v[84:85], v[112:113], -v[114:115]
	v_add_f64 v[112:113], v[28:29], v[118:119]
	v_add_f64 v[28:29], v[86:87], v[116:117]
	;; [unrolled: 1-line block ×3, first 2 shown]
	v_fma_f64 v[28:29], -0.5, v[28:29], v[40:41]
	v_add_f64 v[30:31], v[88:89], -v[38:39]
	v_fmac_f64_e32 v[78:79], s[4:5], v[80:81]
	v_fmac_f64_e32 v[34:35], s[4:5], v[80:81]
	v_fma_f64 v[80:81], s[12:13], v[30:31], v[28:29]
	v_add_f64 v[114:115], v[92:93], -v[36:37]
	v_add_f64 v[84:85], v[82:83], -v[86:87]
	;; [unrolled: 1-line block ×3, first 2 shown]
	v_fmac_f64_e32 v[28:29], s[2:3], v[30:31]
	v_fmac_f64_e32 v[80:81], s[10:11], v[114:115]
	v_add_f64 v[84:85], v[84:85], v[136:137]
	v_fmac_f64_e32 v[28:29], s[8:9], v[114:115]
	v_fmac_f64_e32 v[80:81], s[4:5], v[84:85]
	;; [unrolled: 1-line block ×3, first 2 shown]
	v_add_f64 v[84:85], v[82:83], v[118:119]
	v_fmac_f64_e32 v[40:41], -0.5, v[84:85]
	v_fma_f64 v[84:85], s[2:3], v[114:115], v[40:41]
	v_fmac_f64_e32 v[40:41], s[12:13], v[114:115]
	v_fmac_f64_e32 v[84:85], s[10:11], v[30:31]
	v_fmac_f64_e32 v[40:41], s[8:9], v[30:31]
	v_add_f64 v[30:31], v[42:43], v[88:89]
	v_add_f64 v[30:31], v[30:31], v[92:93]
	;; [unrolled: 1-line block ×3, first 2 shown]
	v_add_f64 v[136:137], v[86:87], -v[82:83]
	v_add_f64 v[138:139], v[116:117], -v[118:119]
	v_add_f64 v[114:115], v[30:31], v[38:39]
	v_add_f64 v[30:31], v[92:93], v[36:37]
	v_add_f64 v[136:137], v[136:137], v[138:139]
	v_fma_f64 v[30:31], -0.5, v[30:31], v[42:43]
	v_add_f64 v[118:119], v[82:83], -v[118:119]
	v_fmac_f64_e32 v[84:85], s[4:5], v[136:137]
	v_fmac_f64_e32 v[40:41], s[4:5], v[136:137]
	v_fma_f64 v[82:83], s[2:3], v[118:119], v[30:31]
	v_add_f64 v[116:117], v[86:87], -v[116:117]
	v_add_f64 v[86:87], v[88:89], -v[92:93]
	;; [unrolled: 1-line block ×3, first 2 shown]
	v_fmac_f64_e32 v[30:31], s[12:13], v[118:119]
	v_fmac_f64_e32 v[82:83], s[8:9], v[116:117]
	v_add_f64 v[86:87], v[86:87], v[136:137]
	v_fmac_f64_e32 v[30:31], s[10:11], v[116:117]
	v_fmac_f64_e32 v[82:83], s[4:5], v[86:87]
	;; [unrolled: 1-line block ×3, first 2 shown]
	v_add_f64 v[86:87], v[88:89], v[38:39]
	v_fmac_f64_e32 v[42:43], -0.5, v[86:87]
	v_fma_f64 v[86:87], s[12:13], v[116:117], v[42:43]
	v_add_f64 v[88:89], v[92:93], -v[88:89]
	v_add_f64 v[36:37], v[36:37], -v[38:39]
	v_fmac_f64_e32 v[42:43], s[2:3], v[116:117]
	v_fmac_f64_e32 v[86:87], s[8:9], v[118:119]
	v_add_f64 v[36:37], v[88:89], v[36:37]
	v_fmac_f64_e32 v[42:43], s[10:11], v[118:119]
	v_fmac_f64_e32 v[86:87], s[4:5], v[36:37]
	;; [unrolled: 1-line block ×3, first 2 shown]
	v_add_f64 v[36:37], v[44:45], v[90:91]
	v_add_f64 v[36:37], v[36:37], v[94:95]
	;; [unrolled: 1-line block ×5, first 2 shown]
	v_fma_f64 v[36:37], -0.5, v[36:37], v[44:45]
	v_add_f64 v[38:39], v[120:121], -v[126:127]
	v_fma_f64 v[88:89], s[12:13], v[38:39], v[36:37]
	v_add_f64 v[118:119], v[122:123], -v[124:125]
	v_add_f64 v[92:93], v[90:91], -v[94:95]
	v_add_f64 v[136:137], v[134:135], -v[132:133]
	v_fmac_f64_e32 v[36:37], s[2:3], v[38:39]
	v_fmac_f64_e32 v[88:89], s[10:11], v[118:119]
	v_add_f64 v[92:93], v[92:93], v[136:137]
	v_fmac_f64_e32 v[36:37], s[8:9], v[118:119]
	v_fmac_f64_e32 v[88:89], s[4:5], v[92:93]
	;; [unrolled: 1-line block ×3, first 2 shown]
	v_add_f64 v[92:93], v[90:91], v[134:135]
	v_fmac_f64_e32 v[44:45], -0.5, v[92:93]
	v_fma_f64 v[92:93], s[2:3], v[118:119], v[44:45]
	v_fmac_f64_e32 v[44:45], s[12:13], v[118:119]
	v_fmac_f64_e32 v[92:93], s[10:11], v[38:39]
	;; [unrolled: 1-line block ×3, first 2 shown]
	v_add_f64 v[38:39], v[46:47], v[120:121]
	v_add_f64 v[38:39], v[38:39], v[122:123]
	;; [unrolled: 1-line block ×3, first 2 shown]
	v_add_f64 v[136:137], v[94:95], -v[90:91]
	v_add_f64 v[138:139], v[132:133], -v[134:135]
	v_add_f64 v[118:119], v[38:39], v[126:127]
	v_add_f64 v[38:39], v[122:123], v[124:125]
	;; [unrolled: 1-line block ×3, first 2 shown]
	v_fma_f64 v[38:39], -0.5, v[38:39], v[46:47]
	v_add_f64 v[134:135], v[90:91], -v[134:135]
	v_fmac_f64_e32 v[92:93], s[4:5], v[136:137]
	v_fmac_f64_e32 v[44:45], s[4:5], v[136:137]
	v_fma_f64 v[90:91], s[2:3], v[134:135], v[38:39]
	v_add_f64 v[132:133], v[94:95], -v[132:133]
	v_add_f64 v[94:95], v[120:121], -v[122:123]
	;; [unrolled: 1-line block ×3, first 2 shown]
	v_fmac_f64_e32 v[38:39], s[12:13], v[134:135]
	v_fmac_f64_e32 v[90:91], s[8:9], v[132:133]
	v_add_f64 v[94:95], v[94:95], v[136:137]
	v_fmac_f64_e32 v[38:39], s[10:11], v[132:133]
	v_fmac_f64_e32 v[90:91], s[4:5], v[94:95]
	;; [unrolled: 1-line block ×3, first 2 shown]
	v_add_f64 v[94:95], v[120:121], v[126:127]
	v_fmac_f64_e32 v[46:47], -0.5, v[94:95]
	v_fma_f64 v[94:95], s[12:13], v[132:133], v[46:47]
	v_add_f64 v[120:121], v[122:123], -v[120:121]
	v_add_f64 v[122:123], v[124:125], -v[126:127]
	v_fmac_f64_e32 v[46:47], s[2:3], v[132:133]
	v_fmac_f64_e32 v[94:95], s[8:9], v[134:135]
	v_add_f64 v[120:121], v[120:121], v[122:123]
	v_fmac_f64_e32 v[46:47], s[10:11], v[134:135]
	v_fmac_f64_e32 v[94:95], s[4:5], v[120:121]
	;; [unrolled: 1-line block ×3, first 2 shown]
	scratch_load_dword v120, off, off       ; 4-byte Folded Reload
	s_waitcnt vmcnt(0)
	ds_write_b128 v120, v[96:99]
	ds_write_b128 v120, v[48:51] offset:48
	ds_write_b128 v120, v[56:59] offset:96
	ds_write_b128 v120, v[20:23] offset:144
	ds_write_b128 v120, v[0:3] offset:192
	scratch_load_dword v0, off, off offset:4 ; 4-byte Folded Reload
	s_waitcnt vmcnt(0)
	ds_write_b128 v0, v[100:103]
	ds_write_b128 v0, v[52:55] offset:48
	ds_write_b128 v0, v[60:63] offset:96
	ds_write_b128 v0, v[16:19] offset:144
	ds_write_b128 v0, v[4:7] offset:192
	scratch_load_dword v0, off, off offset:8 ; 4-byte Folded Reload
	;; [unrolled: 7-line block ×3, first 2 shown]
	v_accvgpr_read_b32 v120, a208
	v_accvgpr_read_b32 v122, a210
	;; [unrolled: 1-line block ×3, first 2 shown]
	s_waitcnt vmcnt(0)
	ds_write_b128 v0, v[108:111]
	ds_write_b128 v0, v[72:75] offset:48
	ds_write_b128 v0, v[76:79] offset:96
	ds_write_b128 v0, v[32:35] offset:144
	ds_write_b128 v0, v[12:15] offset:192
	ds_write_b128 v242, v[112:115]
	ds_write_b128 v242, v[80:83] offset:48
	ds_write_b128 v242, v[84:87] offset:96
	ds_write_b128 v242, v[40:43] offset:144
	ds_write_b128 v242, v[28:31] offset:192
	;; [unrolled: 5-line block ×3, first 2 shown]
	s_waitcnt lgkmcnt(0)
	s_barrier
	ds_read_b128 v[20:23], v210
	ds_read_b128 v[116:119], v210 offset:12000
	ds_read_b128 v[112:115], v210 offset:24000
	;; [unrolled: 1-line block ×29, first 2 shown]
	v_accvgpr_read_b32 v121, a209
	s_waitcnt lgkmcnt(14)
	v_mul_f64 v[214:215], v[122:123], v[118:119]
	v_fmac_f64_e32 v[214:215], v[120:121], v[116:117]
	v_mul_f64 v[116:117], v[122:123], v[116:117]
	v_fma_f64 v[236:237], v[120:121], v[118:119], -v[116:117]
	v_accvgpr_read_b32 v116, a212
	v_accvgpr_read_b32 v118, a214
	v_accvgpr_read_b32 v119, a215
	v_accvgpr_read_b32 v117, a213
	v_mul_f64 v[216:217], v[118:119], v[114:115]
	v_fmac_f64_e32 v[216:217], v[116:117], v[112:113]
	v_mul_f64 v[112:113], v[118:119], v[112:113]
	v_fma_f64 v[232:233], v[116:117], v[114:115], -v[112:113]
	v_accvgpr_read_b32 v112, a216
	v_accvgpr_read_b32 v114, a218
	v_accvgpr_read_b32 v115, a219
	v_accvgpr_read_b32 v113, a217
	;; [unrolled: 8-line block ×5, first 2 shown]
	v_mul_f64 v[240:241], v[102:103], v[98:99]
	s_waitcnt lgkmcnt(3)
	v_mul_f64 v[120:121], v[230:231], v[38:39]
	v_fmac_f64_e32 v[240:241], v[100:101], v[96:97]
	v_mul_f64 v[96:97], v[102:103], v[96:97]
	v_fmac_f64_e32 v[120:121], v[228:229], v[36:37]
	v_mul_f64 v[36:37], v[230:231], v[36:37]
	v_fma_f64 v[246:247], v[100:101], v[98:99], -v[96:97]
	v_accvgpr_read_b32 v96, a232
	v_fma_f64 v[116:117], v[228:229], v[38:39], -v[36:37]
	v_accvgpr_read_b32 v36, a168
	v_accvgpr_read_b32 v98, a234
	v_accvgpr_read_b32 v99, a235
	v_accvgpr_read_b32 v38, a170
	v_accvgpr_read_b32 v39, a171
	v_accvgpr_read_b32 v97, a233
	v_mul_f64 v[234:235], v[98:99], v[94:95]
	v_accvgpr_read_b32 v37, a169
	s_waitcnt lgkmcnt(2)
	v_mul_f64 v[124:125], v[38:39], v[34:35]
	v_fmac_f64_e32 v[234:235], v[96:97], v[92:93]
	v_mul_f64 v[92:93], v[98:99], v[92:93]
	v_fmac_f64_e32 v[124:125], v[36:37], v[32:33]
	v_mul_f64 v[32:33], v[38:39], v[32:33]
	v_fma_f64 v[242:243], v[96:97], v[94:95], -v[92:93]
	v_accvgpr_read_b32 v96, a236
	v_fma_f64 v[118:119], v[36:37], v[34:35], -v[32:33]
	v_accvgpr_read_b32 v32, a164
	v_accvgpr_read_b32 v98, a238
	v_accvgpr_read_b32 v99, a239
	v_accvgpr_read_b32 v34, a166
	v_accvgpr_read_b32 v35, a167
	v_accvgpr_read_b32 v97, a237
	v_mul_f64 v[94:95], v[98:99], v[90:91]
	v_accvgpr_read_b32 v33, a165
	;; [unrolled: 17-line block ×3, first 2 shown]
	s_waitcnt lgkmcnt(0)
	v_mul_f64 v[30:31], v[34:35], v[26:27]
	v_fmac_f64_e32 v[90:91], v[96:97], v[84:85]
	v_mul_f64 v[84:85], v[98:99], v[84:85]
	v_fmac_f64_e32 v[30:31], v[32:33], v[24:25]
	v_mul_f64 v[24:25], v[34:35], v[24:25]
	v_fma_f64 v[254:255], v[96:97], v[86:87], -v[84:85]
	v_accvgpr_read_b32 v84, a244
	v_fma_f64 v[126:127], v[32:33], v[26:27], -v[24:25]
	v_add_f64 v[24:25], v[20:21], v[214:215]
	v_accvgpr_read_b32 v86, a246
	v_accvgpr_read_b32 v87, a247
	v_add_f64 v[24:25], v[24:25], v[216:217]
	v_accvgpr_read_b32 v85, a245
	v_mul_f64 v[172:173], v[86:87], v[82:83]
	v_add_f64 v[24:25], v[24:25], v[212:213]
	v_fmac_f64_e32 v[172:173], v[84:85], v[80:81]
	v_mul_f64 v[80:81], v[86:87], v[80:81]
	v_add_f64 v[112:113], v[24:25], v[152:153]
	v_add_f64 v[24:25], v[216:217], v[212:213]
	v_fma_f64 v[88:89], v[84:85], v[82:83], -v[80:81]
	v_fma_f64 v[84:85], -0.5, v[24:25], v[20:21]
	v_add_f64 v[24:25], v[236:237], -v[110:111]
	v_fma_f64 v[104:105], s[12:13], v[24:25], v[84:85]
	v_add_f64 v[26:27], v[232:233], -v[108:109]
	v_add_f64 v[28:29], v[214:215], -v[216:217]
	;; [unrolled: 1-line block ×3, first 2 shown]
	v_fmac_f64_e32 v[84:85], s[2:3], v[24:25]
	v_fmac_f64_e32 v[104:105], s[10:11], v[26:27]
	v_add_f64 v[28:29], v[28:29], v[32:33]
	v_fmac_f64_e32 v[84:85], s[8:9], v[26:27]
	v_fmac_f64_e32 v[104:105], s[4:5], v[28:29]
	;; [unrolled: 1-line block ×3, first 2 shown]
	v_add_f64 v[28:29], v[214:215], v[152:153]
	v_fmac_f64_e32 v[20:21], -0.5, v[28:29]
	v_fma_f64 v[96:97], s[2:3], v[26:27], v[20:21]
	v_fmac_f64_e32 v[20:21], s[12:13], v[26:27]
	v_fmac_f64_e32 v[96:97], s[10:11], v[24:25]
	;; [unrolled: 1-line block ×3, first 2 shown]
	v_add_f64 v[24:25], v[22:23], v[236:237]
	v_add_f64 v[24:25], v[24:25], v[232:233]
	;; [unrolled: 1-line block ×3, first 2 shown]
	v_accvgpr_read_b32 v80, a248
	v_add_f64 v[28:29], v[216:217], -v[214:215]
	v_add_f64 v[32:33], v[212:213], -v[152:153]
	v_add_f64 v[114:115], v[24:25], v[110:111]
	v_add_f64 v[24:25], v[232:233], v[108:109]
	v_accvgpr_read_b32 v82, a250
	v_accvgpr_read_b32 v83, a251
	v_add_f64 v[28:29], v[28:29], v[32:33]
	v_fma_f64 v[86:87], -0.5, v[24:25], v[22:23]
	v_add_f64 v[24:25], v[214:215], -v[152:153]
	v_accvgpr_read_b32 v81, a249
	v_mul_f64 v[252:253], v[82:83], v[78:79]
	v_fmac_f64_e32 v[96:97], s[4:5], v[28:29]
	v_fmac_f64_e32 v[20:21], s[4:5], v[28:29]
	v_fma_f64 v[106:107], s[2:3], v[24:25], v[86:87]
	v_add_f64 v[26:27], v[216:217], -v[212:213]
	v_add_f64 v[28:29], v[236:237], -v[232:233]
	;; [unrolled: 1-line block ×3, first 2 shown]
	v_fmac_f64_e32 v[86:87], s[12:13], v[24:25]
	v_fmac_f64_e32 v[252:253], v[80:81], v[76:77]
	v_mul_f64 v[76:77], v[82:83], v[76:77]
	v_fmac_f64_e32 v[106:107], s[8:9], v[26:27]
	v_add_f64 v[28:29], v[28:29], v[32:33]
	v_fmac_f64_e32 v[86:87], s[10:11], v[26:27]
	v_fma_f64 v[76:77], v[80:81], v[78:79], -v[76:77]
	v_accvgpr_read_b32 v78, a252
	v_fmac_f64_e32 v[106:107], s[4:5], v[28:29]
	v_fmac_f64_e32 v[86:87], s[4:5], v[28:29]
	v_add_f64 v[28:29], v[236:237], v[110:111]
	v_accvgpr_read_b32 v80, a254
	v_accvgpr_read_b32 v81, a255
	v_fmac_f64_e32 v[22:23], -0.5, v[28:29]
	v_accvgpr_read_b32 v79, a253
	v_mul_f64 v[248:249], v[80:81], v[74:75]
	v_fma_f64 v[98:99], s[12:13], v[26:27], v[22:23]
	v_fmac_f64_e32 v[22:23], s[2:3], v[26:27]
	v_fmac_f64_e32 v[248:249], v[78:79], v[72:73]
	v_mul_f64 v[72:73], v[80:81], v[72:73]
	v_fmac_f64_e32 v[98:99], s[8:9], v[24:25]
	v_fmac_f64_e32 v[22:23], s[10:11], v[24:25]
	v_add_f64 v[24:25], v[16:17], v[244:245]
	v_fma_f64 v[72:73], v[78:79], v[74:75], -v[72:73]
	v_accvgpr_read_b32 v78, a200
	v_add_f64 v[24:25], v[24:25], v[240:241]
	v_accvgpr_read_b32 v80, a202
	v_accvgpr_read_b32 v81, a203
	v_add_f64 v[24:25], v[24:25], v[234:235]
	v_accvgpr_read_b32 v79, a201
	v_mul_f64 v[218:219], v[80:81], v[70:71]
	v_add_f64 v[28:29], v[232:233], -v[236:237]
	v_add_f64 v[32:33], v[108:109], -v[110:111]
	v_add_f64 v[108:109], v[24:25], v[94:95]
	v_add_f64 v[24:25], v[240:241], v[234:235]
	v_fmac_f64_e32 v[218:219], v[78:79], v[68:69]
	v_mul_f64 v[68:69], v[80:81], v[68:69]
	v_add_f64 v[28:29], v[28:29], v[32:33]
	v_fma_f64 v[80:81], -0.5, v[24:25], v[16:17]
	v_add_f64 v[24:25], v[250:251], -v[238:239]
	v_fma_f64 v[78:79], v[78:79], v[70:71], -v[68:69]
	v_accvgpr_read_b32 v68, a196
	v_fmac_f64_e32 v[98:99], s[4:5], v[28:29]
	v_fmac_f64_e32 v[22:23], s[4:5], v[28:29]
	v_fma_f64 v[100:101], s[12:13], v[24:25], v[80:81]
	v_add_f64 v[26:27], v[246:247], -v[242:243]
	v_add_f64 v[28:29], v[244:245], -v[240:241]
	;; [unrolled: 1-line block ×3, first 2 shown]
	v_fmac_f64_e32 v[80:81], s[2:3], v[24:25]
	v_accvgpr_read_b32 v70, a198
	v_accvgpr_read_b32 v71, a199
	v_fmac_f64_e32 v[100:101], s[10:11], v[26:27]
	v_add_f64 v[28:29], v[28:29], v[32:33]
	v_fmac_f64_e32 v[80:81], s[8:9], v[26:27]
	v_accvgpr_read_b32 v69, a197
	v_mul_f64 v[222:223], v[70:71], v[66:67]
	v_fmac_f64_e32 v[100:101], s[4:5], v[28:29]
	v_fmac_f64_e32 v[80:81], s[4:5], v[28:29]
	v_add_f64 v[28:29], v[244:245], v[94:95]
	v_fmac_f64_e32 v[222:223], v[68:69], v[64:65]
	v_mul_f64 v[64:65], v[70:71], v[64:65]
	v_fmac_f64_e32 v[16:17], -0.5, v[28:29]
	v_fma_f64 v[174:175], v[68:69], v[66:67], -v[64:65]
	v_accvgpr_read_b32 v64, a192
	v_fma_f64 v[92:93], s[2:3], v[26:27], v[16:17]
	v_fmac_f64_e32 v[16:17], s[12:13], v[26:27]
	v_accvgpr_read_b32 v66, a194
	v_accvgpr_read_b32 v67, a195
	v_fmac_f64_e32 v[92:93], s[10:11], v[24:25]
	v_fmac_f64_e32 v[16:17], s[8:9], v[24:25]
	v_add_f64 v[24:25], v[18:19], v[250:251]
	v_accvgpr_read_b32 v65, a193
	v_mul_f64 v[226:227], v[66:67], v[62:63]
	v_add_f64 v[24:25], v[24:25], v[246:247]
	v_fmac_f64_e32 v[226:227], v[64:65], v[60:61]
	v_mul_f64 v[60:61], v[66:67], v[60:61]
	v_add_f64 v[24:25], v[24:25], v[242:243]
	v_fma_f64 v[220:221], v[64:65], v[62:63], -v[60:61]
	v_accvgpr_read_b32 v64, a188
	v_add_f64 v[28:29], v[240:241], -v[244:245]
	v_add_f64 v[32:33], v[234:235], -v[94:95]
	v_add_f64 v[110:111], v[24:25], v[238:239]
	v_add_f64 v[24:25], v[246:247], v[242:243]
	v_accvgpr_read_b32 v66, a190
	v_accvgpr_read_b32 v67, a191
	v_add_f64 v[28:29], v[28:29], v[32:33]
	v_fma_f64 v[82:83], -0.5, v[24:25], v[18:19]
	v_add_f64 v[24:25], v[244:245], -v[94:95]
	v_accvgpr_read_b32 v65, a189
	v_mul_f64 v[62:63], v[66:67], v[58:59]
	v_fmac_f64_e32 v[92:93], s[4:5], v[28:29]
	v_fmac_f64_e32 v[16:17], s[4:5], v[28:29]
	v_fma_f64 v[102:103], s[2:3], v[24:25], v[82:83]
	v_add_f64 v[26:27], v[240:241], -v[234:235]
	v_add_f64 v[28:29], v[250:251], -v[246:247]
	v_add_f64 v[32:33], v[238:239], -v[242:243]
	v_fmac_f64_e32 v[82:83], s[12:13], v[24:25]
	v_fmac_f64_e32 v[62:63], v[64:65], v[56:57]
	v_mul_f64 v[56:57], v[66:67], v[56:57]
	v_fmac_f64_e32 v[102:103], s[8:9], v[26:27]
	v_add_f64 v[28:29], v[28:29], v[32:33]
	v_fmac_f64_e32 v[82:83], s[10:11], v[26:27]
	v_fma_f64 v[224:225], v[64:65], v[58:59], -v[56:57]
	v_accvgpr_read_b32 v56, a184
	v_fmac_f64_e32 v[102:103], s[4:5], v[28:29]
	v_fmac_f64_e32 v[82:83], s[4:5], v[28:29]
	v_add_f64 v[28:29], v[250:251], v[238:239]
	v_accvgpr_read_b32 v58, a186
	v_accvgpr_read_b32 v59, a187
	v_fmac_f64_e32 v[18:19], -0.5, v[28:29]
	v_accvgpr_read_b32 v57, a185
	v_mul_f64 v[138:139], v[58:59], v[54:55]
	v_fma_f64 v[94:95], s[12:13], v[26:27], v[18:19]
	v_fmac_f64_e32 v[18:19], s[2:3], v[26:27]
	v_fmac_f64_e32 v[138:139], v[56:57], v[52:53]
	v_mul_f64 v[52:53], v[58:59], v[52:53]
	v_fmac_f64_e32 v[94:95], s[8:9], v[24:25]
	v_fmac_f64_e32 v[18:19], s[10:11], v[24:25]
	v_add_f64 v[24:25], v[12:13], v[90:91]
	v_fma_f64 v[134:135], v[56:57], v[54:55], -v[52:53]
	v_accvgpr_read_b32 v52, a180
	v_add_f64 v[24:25], v[24:25], v[172:173]
	v_accvgpr_read_b32 v54, a182
	v_accvgpr_read_b32 v55, a183
	v_add_f64 v[24:25], v[24:25], v[252:253]
	v_accvgpr_read_b32 v53, a181
	v_mul_f64 v[142:143], v[54:55], v[50:51]
	v_add_f64 v[28:29], v[246:247], -v[250:251]
	v_add_f64 v[32:33], v[242:243], -v[238:239]
	v_add_f64 v[36:37], v[24:25], v[248:249]
	v_add_f64 v[24:25], v[172:173], v[252:253]
	v_fmac_f64_e32 v[142:143], v[52:53], v[48:49]
	v_mul_f64 v[48:49], v[54:55], v[48:49]
	v_add_f64 v[28:29], v[28:29], v[32:33]
	v_fma_f64 v[64:65], -0.5, v[24:25], v[12:13]
	v_add_f64 v[24:25], v[254:255], -v[72:73]
	v_fma_f64 v[136:137], v[52:53], v[50:51], -v[48:49]
	v_fmac_f64_e32 v[94:95], s[4:5], v[28:29]
	v_fmac_f64_e32 v[18:19], s[4:5], v[28:29]
	v_fma_f64 v[52:53], s[12:13], v[24:25], v[64:65]
	v_add_f64 v[26:27], v[88:89], -v[76:77]
	v_add_f64 v[28:29], v[90:91], -v[172:173]
	;; [unrolled: 1-line block ×3, first 2 shown]
	v_fmac_f64_e32 v[64:65], s[2:3], v[24:25]
	v_fmac_f64_e32 v[52:53], s[10:11], v[26:27]
	v_add_f64 v[28:29], v[28:29], v[32:33]
	v_fmac_f64_e32 v[64:65], s[8:9], v[26:27]
	v_fmac_f64_e32 v[52:53], s[4:5], v[28:29]
	;; [unrolled: 1-line block ×3, first 2 shown]
	v_add_f64 v[28:29], v[90:91], v[248:249]
	v_fmac_f64_e32 v[12:13], -0.5, v[28:29]
	v_fma_f64 v[68:69], s[2:3], v[26:27], v[12:13]
	v_fmac_f64_e32 v[12:13], s[12:13], v[26:27]
	v_fmac_f64_e32 v[68:69], s[10:11], v[24:25]
	;; [unrolled: 1-line block ×3, first 2 shown]
	v_add_f64 v[24:25], v[14:15], v[254:255]
	v_add_f64 v[24:25], v[24:25], v[88:89]
	;; [unrolled: 1-line block ×3, first 2 shown]
	v_add_f64 v[28:29], v[172:173], -v[90:91]
	v_add_f64 v[32:33], v[252:253], -v[248:249]
	v_add_f64 v[38:39], v[24:25], v[72:73]
	v_add_f64 v[24:25], v[88:89], v[76:77]
	;; [unrolled: 1-line block ×3, first 2 shown]
	v_fma_f64 v[66:67], -0.5, v[24:25], v[14:15]
	v_add_f64 v[24:25], v[90:91], -v[248:249]
	v_fmac_f64_e32 v[68:69], s[4:5], v[28:29]
	v_fmac_f64_e32 v[12:13], s[4:5], v[28:29]
	v_fma_f64 v[54:55], s[2:3], v[24:25], v[66:67]
	v_add_f64 v[26:27], v[172:173], -v[252:253]
	v_add_f64 v[28:29], v[254:255], -v[88:89]
	;; [unrolled: 1-line block ×3, first 2 shown]
	v_fmac_f64_e32 v[66:67], s[12:13], v[24:25]
	v_accvgpr_read_b32 v48, a176
	v_fmac_f64_e32 v[54:55], s[8:9], v[26:27]
	v_add_f64 v[28:29], v[28:29], v[32:33]
	v_fmac_f64_e32 v[66:67], s[10:11], v[26:27]
	v_accvgpr_read_b32 v50, a178
	v_accvgpr_read_b32 v51, a179
	v_fmac_f64_e32 v[54:55], s[4:5], v[28:29]
	v_fmac_f64_e32 v[66:67], s[4:5], v[28:29]
	v_add_f64 v[28:29], v[254:255], v[72:73]
	v_accvgpr_read_b32 v49, a177
	v_mul_f64 v[150:151], v[50:51], v[46:47]
	v_fmac_f64_e32 v[14:15], -0.5, v[28:29]
	v_fmac_f64_e32 v[150:151], v[48:49], v[44:45]
	v_mul_f64 v[44:45], v[50:51], v[44:45]
	v_fma_f64 v[70:71], s[12:13], v[26:27], v[14:15]
	v_fmac_f64_e32 v[14:15], s[2:3], v[26:27]
	v_fma_f64 v[140:141], v[48:49], v[46:47], -v[44:45]
	v_accvgpr_read_b32 v48, a172
	v_fmac_f64_e32 v[70:71], s[8:9], v[24:25]
	v_fmac_f64_e32 v[14:15], s[10:11], v[24:25]
	v_add_f64 v[24:25], v[8:9], v[218:219]
	v_accvgpr_read_b32 v50, a174
	v_accvgpr_read_b32 v51, a175
	v_add_f64 v[24:25], v[24:25], v[222:223]
	v_accvgpr_read_b32 v49, a173
	v_mul_f64 v[46:47], v[50:51], v[42:43]
	v_add_f64 v[24:25], v[24:25], v[226:227]
	v_fmac_f64_e32 v[46:47], v[48:49], v[40:41]
	v_mul_f64 v[40:41], v[50:51], v[40:41]
	v_add_f64 v[28:29], v[88:89], -v[254:255]
	v_add_f64 v[32:33], v[76:77], -v[72:73]
	v_add_f64 v[72:73], v[24:25], v[62:63]
	v_add_f64 v[24:25], v[222:223], v[226:227]
	v_fma_f64 v[144:145], v[48:49], v[42:43], -v[40:41]
	v_add_f64 v[28:29], v[28:29], v[32:33]
	v_fma_f64 v[48:49], -0.5, v[24:25], v[8:9]
	v_add_f64 v[24:25], v[78:79], -v[224:225]
	v_fmac_f64_e32 v[70:71], s[4:5], v[28:29]
	v_fmac_f64_e32 v[14:15], s[4:5], v[28:29]
	v_fma_f64 v[60:61], s[12:13], v[24:25], v[48:49]
	v_add_f64 v[26:27], v[174:175], -v[220:221]
	v_add_f64 v[28:29], v[218:219], -v[222:223]
	v_add_f64 v[32:33], v[62:63], -v[226:227]
	v_fmac_f64_e32 v[48:49], s[2:3], v[24:25]
	v_fmac_f64_e32 v[60:61], s[10:11], v[26:27]
	v_add_f64 v[28:29], v[28:29], v[32:33]
	v_fmac_f64_e32 v[48:49], s[8:9], v[26:27]
	v_fmac_f64_e32 v[60:61], s[4:5], v[28:29]
	v_fmac_f64_e32 v[48:49], s[4:5], v[28:29]
	v_add_f64 v[28:29], v[218:219], v[62:63]
	v_fmac_f64_e32 v[8:9], -0.5, v[28:29]
	v_fma_f64 v[56:57], s[2:3], v[26:27], v[8:9]
	v_fmac_f64_e32 v[8:9], s[12:13], v[26:27]
	v_fmac_f64_e32 v[56:57], s[10:11], v[24:25]
	v_fmac_f64_e32 v[8:9], s[8:9], v[24:25]
	v_add_f64 v[24:25], v[10:11], v[78:79]
	v_add_f64 v[24:25], v[24:25], v[174:175]
	v_add_f64 v[24:25], v[24:25], v[220:221]
	v_add_f64 v[28:29], v[222:223], -v[218:219]
	v_add_f64 v[32:33], v[226:227], -v[62:63]
	v_add_f64 v[74:75], v[24:25], v[224:225]
	v_add_f64 v[24:25], v[174:175], v[220:221]
	v_add_f64 v[28:29], v[28:29], v[32:33]
	v_fma_f64 v[50:51], -0.5, v[24:25], v[10:11]
	v_add_f64 v[24:25], v[218:219], -v[62:63]
	v_fmac_f64_e32 v[56:57], s[4:5], v[28:29]
	v_fmac_f64_e32 v[8:9], s[4:5], v[28:29]
	v_fma_f64 v[62:63], s[2:3], v[24:25], v[50:51]
	v_add_f64 v[26:27], v[222:223], -v[226:227]
	v_add_f64 v[28:29], v[78:79], -v[174:175]
	v_add_f64 v[32:33], v[224:225], -v[220:221]
	v_fmac_f64_e32 v[50:51], s[12:13], v[24:25]
	v_fmac_f64_e32 v[62:63], s[8:9], v[26:27]
	v_add_f64 v[28:29], v[28:29], v[32:33]
	v_fmac_f64_e32 v[50:51], s[10:11], v[26:27]
	v_fmac_f64_e32 v[62:63], s[4:5], v[28:29]
	v_fmac_f64_e32 v[50:51], s[4:5], v[28:29]
	v_add_f64 v[28:29], v[78:79], v[224:225]
	v_fmac_f64_e32 v[10:11], -0.5, v[28:29]
	v_fma_f64 v[58:59], s[12:13], v[26:27], v[10:11]
	v_fmac_f64_e32 v[10:11], s[2:3], v[26:27]
	v_fmac_f64_e32 v[58:59], s[8:9], v[24:25]
	v_fmac_f64_e32 v[10:11], s[10:11], v[24:25]
	v_add_f64 v[24:25], v[4:5], v[138:139]
	v_add_f64 v[24:25], v[24:25], v[142:143]
	v_add_f64 v[24:25], v[24:25], v[150:151]
	v_add_f64 v[28:29], v[174:175], -v[78:79]
	v_add_f64 v[32:33], v[220:221], -v[224:225]
	v_add_f64 v[76:77], v[24:25], v[46:47]
	v_add_f64 v[24:25], v[142:143], v[150:151]
	;; [unrolled: 28-line block ×3, first 2 shown]
	v_add_f64 v[28:29], v[28:29], v[34:35]
	v_fma_f64 v[34:35], -0.5, v[24:25], v[6:7]
	v_add_f64 v[24:25], v[138:139], -v[46:47]
	v_fmac_f64_e32 v[40:41], s[4:5], v[28:29]
	v_fmac_f64_e32 v[4:5], s[4:5], v[28:29]
	v_fma_f64 v[46:47], s[2:3], v[24:25], v[34:35]
	v_add_f64 v[26:27], v[142:143], -v[150:151]
	v_add_f64 v[28:29], v[134:135], -v[136:137]
	;; [unrolled: 1-line block ×3, first 2 shown]
	v_fmac_f64_e32 v[34:35], s[12:13], v[24:25]
	v_fmac_f64_e32 v[46:47], s[8:9], v[26:27]
	v_add_f64 v[28:29], v[28:29], v[42:43]
	v_fmac_f64_e32 v[34:35], s[10:11], v[26:27]
	v_fmac_f64_e32 v[46:47], s[4:5], v[28:29]
	;; [unrolled: 1-line block ×3, first 2 shown]
	v_add_f64 v[28:29], v[134:135], v[144:145]
	v_fmac_f64_e32 v[6:7], -0.5, v[28:29]
	v_fma_f64 v[42:43], s[12:13], v[26:27], v[6:7]
	v_fmac_f64_e32 v[6:7], s[2:3], v[26:27]
	v_fmac_f64_e32 v[42:43], s[8:9], v[24:25]
	;; [unrolled: 1-line block ×3, first 2 shown]
	v_add_f64 v[24:25], v[0:1], v[120:121]
	v_add_f64 v[24:25], v[24:25], v[124:125]
	v_add_f64 v[28:29], v[136:137], -v[134:135]
	v_add_f64 v[88:89], v[140:141], -v[144:145]
	v_add_f64 v[24:25], v[24:25], v[132:133]
	v_add_f64 v[28:29], v[28:29], v[88:89]
	;; [unrolled: 1-line block ×4, first 2 shown]
	v_fma_f64 v[228:229], -0.5, v[24:25], v[0:1]
	v_add_f64 v[26:27], v[116:117], -v[126:127]
	v_fmac_f64_e32 v[42:43], s[4:5], v[28:29]
	v_fmac_f64_e32 v[6:7], s[4:5], v[28:29]
	v_fma_f64 v[28:29], s[12:13], v[26:27], v[228:229]
	v_add_f64 v[90:91], v[118:119], -v[122:123]
	v_add_f64 v[24:25], v[120:121], -v[124:125]
	;; [unrolled: 1-line block ×3, first 2 shown]
	v_fmac_f64_e32 v[228:229], s[2:3], v[26:27]
	v_fmac_f64_e32 v[28:29], s[10:11], v[90:91]
	v_add_f64 v[24:25], v[24:25], v[134:135]
	v_fmac_f64_e32 v[228:229], s[8:9], v[90:91]
	v_fmac_f64_e32 v[28:29], s[4:5], v[24:25]
	;; [unrolled: 1-line block ×3, first 2 shown]
	v_add_f64 v[24:25], v[120:121], v[30:31]
	v_fmac_f64_e32 v[0:1], -0.5, v[24:25]
	v_fma_f64 v[24:25], s[2:3], v[90:91], v[0:1]
	v_fmac_f64_e32 v[0:1], s[12:13], v[90:91]
	v_fmac_f64_e32 v[24:25], s[10:11], v[26:27]
	;; [unrolled: 1-line block ×3, first 2 shown]
	v_add_f64 v[26:27], v[2:3], v[116:117]
	v_add_f64 v[26:27], v[26:27], v[118:119]
	;; [unrolled: 1-line block ×5, first 2 shown]
	v_add_f64 v[134:135], v[124:125], -v[120:121]
	v_fma_f64 v[230:231], -0.5, v[26:27], v[2:3]
	v_add_f64 v[120:121], v[120:121], -v[30:31]
	v_add_f64 v[136:137], v[132:133], -v[30:31]
	v_fma_f64 v[30:31], s[2:3], v[120:121], v[230:231]
	v_add_f64 v[124:125], v[124:125], -v[132:133]
	v_add_f64 v[26:27], v[116:117], -v[118:119]
	;; [unrolled: 1-line block ×3, first 2 shown]
	v_fmac_f64_e32 v[230:231], s[12:13], v[120:121]
	v_fmac_f64_e32 v[30:31], s[8:9], v[124:125]
	v_add_f64 v[26:27], v[26:27], v[132:133]
	v_fmac_f64_e32 v[230:231], s[10:11], v[124:125]
	v_fmac_f64_e32 v[30:31], s[4:5], v[26:27]
	;; [unrolled: 1-line block ×3, first 2 shown]
	v_add_f64 v[26:27], v[116:117], v[126:127]
	v_fmac_f64_e32 v[2:3], -0.5, v[26:27]
	v_fma_f64 v[26:27], s[12:13], v[124:125], v[2:3]
	v_add_f64 v[116:117], v[118:119], -v[116:117]
	v_add_f64 v[118:119], v[122:123], -v[126:127]
	v_fmac_f64_e32 v[2:3], s[2:3], v[124:125]
	v_fmac_f64_e32 v[26:27], s[8:9], v[120:121]
	v_add_f64 v[116:117], v[116:117], v[118:119]
	v_fmac_f64_e32 v[2:3], s[10:11], v[120:121]
	v_fmac_f64_e32 v[26:27], s[4:5], v[116:117]
	;; [unrolled: 1-line block ×3, first 2 shown]
	s_barrier
	scratch_load_dword v116, off, off offset:264 ; 4-byte Folded Reload
	s_waitcnt vmcnt(0)
	ds_write_b128 v116, v[112:115]
	ds_write_b128 v116, v[104:107] offset:240
	ds_write_b128 v116, v[96:99] offset:480
	;; [unrolled: 1-line block ×4, first 2 shown]
	scratch_load_dword v20, off, off offset:300 ; 4-byte Folded Reload
	v_add_f64 v[134:135], v[134:135], v[136:137]
	v_accvgpr_read_b32 v124, a156
	v_fmac_f64_e32 v[24:25], s[4:5], v[134:135]
	v_fmac_f64_e32 v[0:1], s[4:5], v[134:135]
	v_accvgpr_read_b32 v126, a158
	v_accvgpr_read_b32 v127, a159
	s_waitcnt vmcnt(0)
	ds_write_b128 v20, v[108:111]
	ds_write_b128 v20, v[100:103] offset:240
	ds_write_b128 v20, v[92:95] offset:480
	ds_write_b128 v20, v[16:19] offset:720
	ds_write_b128 v20, v[80:83] offset:960
	ds_write_b128 v181, v[36:39]
	ds_write_b128 v181, v[52:55] offset:240
	ds_write_b128 v181, v[68:71] offset:480
	ds_write_b128 v181, v[12:15] offset:720
	ds_write_b128 v181, v[64:67] offset:960
	;; [unrolled: 5-line block ×5, first 2 shown]
	s_waitcnt lgkmcnt(0)
	s_barrier
	ds_read_b128 v[40:43], v210
	ds_read_b128 v[116:119], v210 offset:6000
	ds_read_b128 v[112:115], v210 offset:12000
	;; [unrolled: 1-line block ×29, first 2 shown]
	v_accvgpr_read_b32 v125, a157
	s_waitcnt lgkmcnt(14)
	v_mul_f64 v[122:123], v[126:127], v[118:119]
	v_fmac_f64_e32 v[122:123], v[124:125], v[116:117]
	v_mul_f64 v[116:117], v[126:127], v[116:117]
	v_fma_f64 v[124:125], v[124:125], v[118:119], -v[116:117]
	v_accvgpr_read_b32 v116, a152
	v_accvgpr_read_b32 v118, a154
	v_accvgpr_read_b32 v119, a155
	v_accvgpr_read_b32 v117, a153
	v_mul_f64 v[150:151], v[118:119], v[114:115]
	v_fmac_f64_e32 v[150:151], v[116:117], v[112:113]
	v_mul_f64 v[112:113], v[118:119], v[112:113]
	v_fma_f64 v[172:173], v[116:117], v[114:115], -v[112:113]
	v_accvgpr_read_b32 v112, a148
	v_accvgpr_read_b32 v114, a150
	v_accvgpr_read_b32 v115, a151
	v_accvgpr_read_b32 v113, a149
	;; [unrolled: 8-line block ×14, first 2 shown]
	s_waitcnt lgkmcnt(13)
	v_mul_f64 v[66:67], v[86:87], v[62:63]
	v_fmac_f64_e32 v[66:67], v[84:85], v[60:61]
	v_mul_f64 v[60:61], v[86:87], v[60:61]
	v_fma_f64 v[62:63], v[84:85], v[62:63], -v[60:61]
	v_accvgpr_read_b32 v84, a124
	v_accvgpr_read_b32 v86, a126
	v_accvgpr_read_b32 v87, a127
	v_accvgpr_read_b32 v85, a125
	s_waitcnt lgkmcnt(12)
	v_mul_f64 v[60:61], v[86:87], v[58:59]
	v_fmac_f64_e32 v[60:61], v[84:85], v[56:57]
	v_mul_f64 v[56:57], v[86:87], v[56:57]
	v_fma_f64 v[56:57], v[84:85], v[58:59], -v[56:57]
	v_accvgpr_read_b32 v84, a132
	v_accvgpr_read_b32 v86, a134
	v_accvgpr_read_b32 v87, a135
	v_accvgpr_read_b32 v85, a133
	;; [unrolled: 9-line block ×12, first 2 shown]
	s_waitcnt lgkmcnt(0)
	v_mul_f64 v[100:101], v[14:15], v[10:11]
	v_fmac_f64_e32 v[100:101], v[12:13], v[8:9]
	v_mul_f64 v[8:9], v[14:15], v[8:9]
	v_fma_f64 v[90:91], v[12:13], v[10:11], -v[8:9]
	v_add_f64 v[8:9], v[40:41], v[150:151]
	v_add_f64 v[8:9], v[8:9], v[212:213]
	;; [unrolled: 1-line block ×5, first 2 shown]
	v_fma_f64 v[30:31], -0.5, v[8:9], v[40:41]
	v_add_f64 v[8:9], v[172:173], -v[214:215]
	v_fma_f64 v[32:33], s[12:13], v[8:9], v[30:31]
	v_add_f64 v[10:11], v[174:175], -v[218:219]
	v_add_f64 v[12:13], v[150:151], -v[212:213]
	v_add_f64 v[14:15], v[168:169], -v[152:153]
	v_fmac_f64_e32 v[30:31], s[2:3], v[8:9]
	v_fmac_f64_e32 v[32:33], s[10:11], v[10:11]
	v_add_f64 v[12:13], v[12:13], v[14:15]
	v_fmac_f64_e32 v[30:31], s[8:9], v[10:11]
	v_fmac_f64_e32 v[32:33], s[4:5], v[12:13]
	v_fmac_f64_e32 v[30:31], s[4:5], v[12:13]
	v_add_f64 v[12:13], v[150:151], v[168:169]
	v_fmac_f64_e32 v[40:41], -0.5, v[12:13]
	v_fma_f64 v[38:39], s[2:3], v[10:11], v[40:41]
	v_fmac_f64_e32 v[40:41], s[12:13], v[10:11]
	v_fmac_f64_e32 v[38:39], s[10:11], v[8:9]
	v_fmac_f64_e32 v[40:41], s[8:9], v[8:9]
	v_add_f64 v[8:9], v[42:43], v[172:173]
	v_add_f64 v[8:9], v[8:9], v[174:175]
	v_add_f64 v[8:9], v[8:9], v[218:219]
	v_add_f64 v[12:13], v[212:213], -v[150:151]
	v_add_f64 v[14:15], v[152:153], -v[168:169]
	v_add_f64 v[34:35], v[8:9], v[214:215]
	v_add_f64 v[8:9], v[174:175], v[218:219]
	v_add_f64 v[12:13], v[12:13], v[14:15]
	v_fma_f64 v[50:51], -0.5, v[8:9], v[42:43]
	v_add_f64 v[8:9], v[150:151], -v[168:169]
	v_fmac_f64_e32 v[38:39], s[4:5], v[12:13]
	v_fmac_f64_e32 v[40:41], s[4:5], v[12:13]
	v_fma_f64 v[46:47], s[2:3], v[8:9], v[50:51]
	v_add_f64 v[10:11], v[212:213], -v[152:153]
	v_add_f64 v[12:13], v[172:173], -v[174:175]
	v_add_f64 v[14:15], v[214:215], -v[218:219]
	v_fmac_f64_e32 v[50:51], s[12:13], v[8:9]
	v_fmac_f64_e32 v[46:47], s[8:9], v[10:11]
	v_add_f64 v[12:13], v[12:13], v[14:15]
	v_fmac_f64_e32 v[50:51], s[10:11], v[10:11]
	v_fmac_f64_e32 v[46:47], s[4:5], v[12:13]
	v_fmac_f64_e32 v[50:51], s[4:5], v[12:13]
	v_add_f64 v[12:13], v[172:173], v[214:215]
	v_fmac_f64_e32 v[42:43], -0.5, v[12:13]
	v_fma_f64 v[150:151], s[12:13], v[10:11], v[42:43]
	v_fmac_f64_e32 v[42:43], s[2:3], v[10:11]
	v_fmac_f64_e32 v[150:151], s[8:9], v[8:9]
	v_fmac_f64_e32 v[42:43], s[10:11], v[8:9]
	v_add_f64 v[8:9], v[122:123], v[136:137]
	v_add_f64 v[8:9], v[8:9], v[140:141]
	v_add_f64 v[8:9], v[8:9], v[142:143]
	v_add_f64 v[12:13], v[174:175], -v[172:173]
	v_add_f64 v[14:15], v[218:219], -v[214:215]
	v_add_f64 v[36:37], v[8:9], v[144:145]
	v_add_f64 v[8:9], v[140:141], v[142:143]
	v_add_f64 v[12:13], v[12:13], v[14:15]
	v_fma_f64 v[22:23], -0.5, v[8:9], v[122:123]
	v_add_f64 v[8:9], v[126:127], -v[138:139]
	v_fmac_f64_e32 v[150:151], s[4:5], v[12:13]
	v_fmac_f64_e32 v[42:43], s[4:5], v[12:13]
	;; [unrolled: 28-line block ×3, first 2 shown]
	v_fma_f64 v[14:15], s[2:3], v[8:9], v[44:45]
	v_add_f64 v[12:13], v[140:141], -v[142:143]
	v_add_f64 v[16:17], v[126:127], -v[132:133]
	;; [unrolled: 1-line block ×3, first 2 shown]
	v_fmac_f64_e32 v[44:45], s[12:13], v[8:9]
	v_fmac_f64_e32 v[14:15], s[8:9], v[12:13]
	v_add_f64 v[16:17], v[16:17], v[18:19]
	v_fmac_f64_e32 v[44:45], s[10:11], v[12:13]
	v_fmac_f64_e32 v[14:15], s[4:5], v[16:17]
	;; [unrolled: 1-line block ×3, first 2 shown]
	v_add_f64 v[16:17], v[126:127], v[138:139]
	v_fmac_f64_e32 v[124:125], -0.5, v[16:17]
	v_fma_f64 v[136:137], s[12:13], v[12:13], v[124:125]
	v_add_f64 v[16:17], v[132:133], -v[126:127]
	v_add_f64 v[18:19], v[134:135], -v[138:139]
	v_fmac_f64_e32 v[124:125], s[2:3], v[12:13]
	v_add_f64 v[16:17], v[16:17], v[18:19]
	v_fmac_f64_e32 v[124:125], s[10:11], v[8:9]
	v_fmac_f64_e32 v[136:137], s[8:9], v[8:9]
	;; [unrolled: 1-line block ×4, first 2 shown]
	v_mul_f64 v[134:135], v[124:125], s[12:13]
	v_mul_f64 v[124:125], v[124:125], s[20:21]
	;; [unrolled: 1-line block ×3, first 2 shown]
	v_fmac_f64_e32 v[134:135], s[20:21], v[122:123]
	v_mul_f64 v[140:141], v[14:15], s[22:23]
	v_fmac_f64_e32 v[124:125], s[2:3], v[122:123]
	v_mul_f64 v[122:123], v[44:45], s[18:19]
	;; [unrolled: 2-line block ×4, first 2 shown]
	v_fmac_f64_e32 v[122:123], s[8:9], v[22:23]
	v_add_f64 v[16:17], v[28:29], v[36:37]
	v_mul_f64 v[126:127], v[14:15], s[10:11]
	v_add_f64 v[8:9], v[38:39], v[132:133]
	v_fmac_f64_e32 v[138:139], s[18:19], v[22:23]
	v_add_f64 v[18:19], v[34:35], v[152:153]
	v_add_f64 v[14:15], v[46:47], v[140:141]
	v_fmac_f64_e32 v[136:137], s[2:3], v[26:27]
	v_add_f64 v[26:27], v[42:43], v[124:125]
	v_add_f64 v[22:23], v[50:51], v[122:123]
	v_add_f64 v[36:37], v[28:29], -v[36:37]
	v_add_f64 v[28:29], v[38:39], -v[132:133]
	;; [unrolled: 1-line block ×6, first 2 shown]
	v_add_f64 v[50:51], v[4:5], v[82:83]
	v_add_f64 v[50:51], v[50:51], v[74:75]
	;; [unrolled: 1-line block ×5, first 2 shown]
	v_fmac_f64_e32 v[126:127], s[22:23], v[10:11]
	v_fma_f64 v[122:123], -0.5, v[50:51], v[4:5]
	v_add_f64 v[50:51], v[78:79], -v[54:55]
	v_add_f64 v[12:13], v[32:33], v[126:127]
	v_add_f64 v[24:25], v[40:41], v[134:135]
	;; [unrolled: 1-line block ×4, first 2 shown]
	v_add_f64 v[32:33], v[32:33], -v[126:127]
	v_add_f64 v[44:45], v[40:41], -v[134:135]
	;; [unrolled: 1-line block ×4, first 2 shown]
	v_fma_f64 v[126:127], s[12:13], v[50:51], v[122:123]
	v_add_f64 v[132:133], v[70:71], -v[62:63]
	v_add_f64 v[134:135], v[82:83], -v[74:75]
	;; [unrolled: 1-line block ×3, first 2 shown]
	v_fmac_f64_e32 v[122:123], s[2:3], v[50:51]
	v_fmac_f64_e32 v[126:127], s[10:11], v[132:133]
	v_add_f64 v[134:135], v[134:135], v[136:137]
	v_fmac_f64_e32 v[122:123], s[8:9], v[132:133]
	v_fmac_f64_e32 v[126:127], s[4:5], v[134:135]
	;; [unrolled: 1-line block ×3, first 2 shown]
	v_add_f64 v[134:135], v[82:83], v[58:59]
	v_fmac_f64_e32 v[4:5], -0.5, v[134:135]
	v_fma_f64 v[136:137], s[2:3], v[132:133], v[4:5]
	v_fmac_f64_e32 v[4:5], s[12:13], v[132:133]
	v_fmac_f64_e32 v[136:137], s[10:11], v[50:51]
	;; [unrolled: 1-line block ×3, first 2 shown]
	v_add_f64 v[50:51], v[6:7], v[78:79]
	v_add_f64 v[50:51], v[50:51], v[70:71]
	v_add_f64 v[134:135], v[74:75], -v[82:83]
	v_add_f64 v[138:139], v[66:67], -v[58:59]
	v_add_f64 v[50:51], v[50:51], v[62:63]
	v_add_f64 v[134:135], v[134:135], v[138:139]
	;; [unrolled: 1-line block ×4, first 2 shown]
	v_fmac_f64_e32 v[136:137], s[4:5], v[134:135]
	v_fmac_f64_e32 v[4:5], s[4:5], v[134:135]
	v_fma_f64 v[134:135], -0.5, v[50:51], v[6:7]
	v_add_f64 v[50:51], v[82:83], -v[58:59]
	v_fma_f64 v[82:83], s[2:3], v[50:51], v[134:135]
	v_add_f64 v[58:59], v[74:75], -v[66:67]
	v_add_f64 v[66:67], v[78:79], -v[70:71]
	;; [unrolled: 1-line block ×3, first 2 shown]
	v_fmac_f64_e32 v[134:135], s[12:13], v[50:51]
	v_fmac_f64_e32 v[82:83], s[8:9], v[58:59]
	v_add_f64 v[66:67], v[66:67], v[74:75]
	v_fmac_f64_e32 v[134:135], s[10:11], v[58:59]
	v_fmac_f64_e32 v[82:83], s[4:5], v[66:67]
	v_fmac_f64_e32 v[134:135], s[4:5], v[66:67]
	v_add_f64 v[66:67], v[78:79], v[54:55]
	v_fmac_f64_e32 v[6:7], -0.5, v[66:67]
	v_fma_f64 v[138:139], s[12:13], v[58:59], v[6:7]
	v_fmac_f64_e32 v[6:7], s[2:3], v[58:59]
	v_fmac_f64_e32 v[138:139], s[8:9], v[50:51]
	;; [unrolled: 1-line block ×3, first 2 shown]
	v_add_f64 v[50:51], v[120:121], v[76:77]
	v_add_f64 v[50:51], v[50:51], v[68:69]
	;; [unrolled: 1-line block ×3, first 2 shown]
	v_add_f64 v[66:67], v[70:71], -v[78:79]
	v_add_f64 v[54:55], v[62:63], -v[54:55]
	v_add_f64 v[70:71], v[50:51], v[52:53]
	v_add_f64 v[50:51], v[68:69], v[60:61]
	;; [unrolled: 1-line block ×3, first 2 shown]
	v_fma_f64 v[62:63], -0.5, v[50:51], v[120:121]
	v_add_f64 v[50:51], v[72:73], -v[48:49]
	v_fmac_f64_e32 v[138:139], s[4:5], v[54:55]
	v_fmac_f64_e32 v[6:7], s[4:5], v[54:55]
	v_fma_f64 v[54:55], s[12:13], v[50:51], v[62:63]
	v_add_f64 v[58:59], v[64:65], -v[56:57]
	v_add_f64 v[66:67], v[76:77], -v[68:69]
	;; [unrolled: 1-line block ×3, first 2 shown]
	v_fmac_f64_e32 v[62:63], s[2:3], v[50:51]
	v_fmac_f64_e32 v[54:55], s[10:11], v[58:59]
	v_add_f64 v[66:67], v[66:67], v[74:75]
	v_fmac_f64_e32 v[62:63], s[8:9], v[58:59]
	v_fmac_f64_e32 v[54:55], s[4:5], v[66:67]
	;; [unrolled: 1-line block ×3, first 2 shown]
	v_add_f64 v[66:67], v[76:77], v[52:53]
	v_fmac_f64_e32 v[120:121], -0.5, v[66:67]
	v_fma_f64 v[66:67], s[2:3], v[58:59], v[120:121]
	v_fmac_f64_e32 v[120:121], s[12:13], v[58:59]
	v_fmac_f64_e32 v[66:67], s[10:11], v[50:51]
	;; [unrolled: 1-line block ×3, first 2 shown]
	v_add_f64 v[50:51], v[80:81], v[72:73]
	v_add_f64 v[74:75], v[68:69], -v[76:77]
	v_add_f64 v[78:79], v[60:61], -v[52:53]
	v_add_f64 v[50:51], v[50:51], v[64:65]
	v_add_f64 v[74:75], v[74:75], v[78:79]
	;; [unrolled: 1-line block ×3, first 2 shown]
	v_fmac_f64_e32 v[66:67], s[4:5], v[74:75]
	v_fmac_f64_e32 v[120:121], s[4:5], v[74:75]
	v_add_f64 v[74:75], v[50:51], v[48:49]
	v_add_f64 v[50:51], v[64:65], v[56:57]
	v_fma_f64 v[78:79], -0.5, v[50:51], v[80:81]
	v_add_f64 v[50:51], v[76:77], -v[52:53]
	v_fma_f64 v[76:77], s[2:3], v[50:51], v[78:79]
	v_add_f64 v[52:53], v[68:69], -v[60:61]
	v_add_f64 v[58:59], v[72:73], -v[64:65]
	v_add_f64 v[60:61], v[48:49], -v[56:57]
	v_fmac_f64_e32 v[78:79], s[12:13], v[50:51]
	v_fmac_f64_e32 v[76:77], s[8:9], v[52:53]
	v_add_f64 v[58:59], v[58:59], v[60:61]
	v_fmac_f64_e32 v[78:79], s[10:11], v[52:53]
	v_fmac_f64_e32 v[76:77], s[4:5], v[58:59]
	;; [unrolled: 1-line block ×3, first 2 shown]
	v_add_f64 v[58:59], v[72:73], v[48:49]
	v_fmac_f64_e32 v[80:81], -0.5, v[58:59]
	v_fma_f64 v[68:69], s[12:13], v[52:53], v[80:81]
	v_add_f64 v[58:59], v[64:65], -v[72:73]
	v_add_f64 v[48:49], v[56:57], -v[48:49]
	v_fmac_f64_e32 v[80:81], s[2:3], v[52:53]
	v_add_f64 v[48:49], v[58:59], v[48:49]
	v_fmac_f64_e32 v[80:81], s[10:11], v[50:51]
	v_fmac_f64_e32 v[80:81], s[4:5], v[48:49]
	;; [unrolled: 1-line block ×3, first 2 shown]
	v_mul_f64 v[142:143], v[80:81], s[12:13]
	v_mul_f64 v[168:169], v[80:81], s[20:21]
	v_fmac_f64_e32 v[68:69], s[4:5], v[48:49]
	v_fmac_f64_e32 v[142:143], s[20:21], v[120:121]
	v_mul_f64 v[150:151], v[76:77], s[22:23]
	v_fmac_f64_e32 v[168:169], s[2:3], v[120:121]
	v_mul_f64 v[120:121], v[78:79], s[18:19]
	v_mul_f64 v[72:73], v[76:77], s[10:11]
	;; [unrolled: 1-line block ×4, first 2 shown]
	v_fmac_f64_e32 v[150:151], s[8:9], v[54:55]
	v_mul_f64 v[152:153], v[68:69], s[4:5]
	v_fmac_f64_e32 v[120:121], s[8:9], v[62:63]
	v_fmac_f64_e32 v[72:73], s[22:23], v[54:55]
	;; [unrolled: 1-line block ×4, first 2 shown]
	v_add_f64 v[58:59], v[132:133], v[74:75]
	v_add_f64 v[54:55], v[82:83], v[150:151]
	v_fmac_f64_e32 v[152:153], s[2:3], v[66:67]
	v_add_f64 v[66:67], v[6:7], v[168:169]
	v_add_f64 v[62:63], v[134:135], v[120:121]
	v_add_f64 v[78:79], v[132:133], -v[74:75]
	v_add_f64 v[74:75], v[82:83], -v[150:151]
	;; [unrolled: 1-line block ×4, first 2 shown]
	v_add_f64 v[120:121], v[0:1], v[112:113]
	v_add_f64 v[120:121], v[120:121], v[114:115]
	;; [unrolled: 1-line block ×5, first 2 shown]
	v_add_f64 v[80:81], v[4:5], -v[142:143]
	v_add_f64 v[4:5], v[122:123], -v[144:145]
	v_add_f64 v[122:123], v[120:121], v[118:119]
	v_add_f64 v[120:121], v[114:115], v[116:117]
	;; [unrolled: 1-line block ×3, first 2 shown]
	v_add_f64 v[72:73], v[126:127], -v[72:73]
	v_fma_f64 v[120:121], -0.5, v[120:121], v[0:1]
	v_add_f64 v[126:127], v[104:105], -v[110:111]
	v_add_f64 v[56:57], v[124:125], v[70:71]
	v_add_f64 v[48:49], v[136:137], v[140:141]
	v_add_f64 v[76:77], v[124:125], -v[70:71]
	v_add_f64 v[68:69], v[136:137], -v[140:141]
	v_fma_f64 v[124:125], s[12:13], v[126:127], v[120:121]
	v_add_f64 v[132:133], v[106:107], -v[108:109]
	v_add_f64 v[134:135], v[112:113], -v[114:115]
	;; [unrolled: 1-line block ×3, first 2 shown]
	v_fmac_f64_e32 v[120:121], s[2:3], v[126:127]
	v_fmac_f64_e32 v[124:125], s[10:11], v[132:133]
	v_add_f64 v[134:135], v[134:135], v[136:137]
	v_fmac_f64_e32 v[120:121], s[8:9], v[132:133]
	v_fmac_f64_e32 v[124:125], s[4:5], v[134:135]
	;; [unrolled: 1-line block ×3, first 2 shown]
	v_add_f64 v[134:135], v[112:113], v[118:119]
	v_fmac_f64_e32 v[0:1], -0.5, v[134:135]
	v_add_f64 v[50:51], v[138:139], v[152:153]
	v_add_f64 v[70:71], v[138:139], -v[152:153]
	v_fma_f64 v[134:135], s[2:3], v[132:133], v[0:1]
	v_add_f64 v[136:137], v[114:115], -v[112:113]
	v_add_f64 v[138:139], v[116:117], -v[118:119]
	v_fmac_f64_e32 v[0:1], s[12:13], v[132:133]
	v_add_f64 v[132:133], v[106:107], v[108:109]
	v_fmac_f64_e32 v[134:135], s[10:11], v[126:127]
	v_add_f64 v[136:137], v[136:137], v[138:139]
	v_fmac_f64_e32 v[0:1], s[8:9], v[126:127]
	v_fma_f64 v[132:133], -0.5, v[132:133], v[2:3]
	v_add_f64 v[112:113], v[112:113], -v[118:119]
	v_fmac_f64_e32 v[134:135], s[4:5], v[136:137]
	v_fmac_f64_e32 v[0:1], s[4:5], v[136:137]
	v_fma_f64 v[118:119], s[2:3], v[112:113], v[132:133]
	v_add_f64 v[114:115], v[114:115], -v[116:117]
	v_add_f64 v[116:117], v[104:105], -v[106:107]
	;; [unrolled: 1-line block ×3, first 2 shown]
	v_fmac_f64_e32 v[132:133], s[12:13], v[112:113]
	v_add_f64 v[126:127], v[2:3], v[104:105]
	v_fmac_f64_e32 v[118:119], s[8:9], v[114:115]
	v_add_f64 v[116:117], v[116:117], v[136:137]
	;; [unrolled: 2-line block ×3, first 2 shown]
	v_fmac_f64_e32 v[118:119], s[4:5], v[116:117]
	v_fmac_f64_e32 v[132:133], s[4:5], v[116:117]
	v_add_f64 v[116:117], v[104:105], v[110:111]
	v_add_f64 v[104:105], v[106:107], -v[104:105]
	v_add_f64 v[106:107], v[108:109], -v[110:111]
	v_fmac_f64_e32 v[2:3], -0.5, v[116:117]
	v_add_f64 v[104:105], v[104:105], v[106:107]
	v_add_f64 v[106:107], v[94:95], v[96:97]
	v_add_f64 v[126:127], v[126:127], v[108:109]
	v_fma_f64 v[136:137], s[12:13], v[114:115], v[2:3]
	v_fmac_f64_e32 v[2:3], s[2:3], v[114:115]
	v_fma_f64 v[106:107], -0.5, v[106:107], v[98:99]
	v_add_f64 v[108:109], v[84:85], -v[90:91]
	v_add_f64 v[126:127], v[126:127], v[110:111]
	v_fmac_f64_e32 v[136:137], s[8:9], v[112:113]
	v_fmac_f64_e32 v[2:3], s[10:11], v[112:113]
	v_fma_f64 v[110:111], s[12:13], v[108:109], v[106:107]
	v_add_f64 v[112:113], v[86:87], -v[88:89]
	v_add_f64 v[114:115], v[92:93], -v[94:95]
	;; [unrolled: 1-line block ×3, first 2 shown]
	v_fmac_f64_e32 v[106:107], s[2:3], v[108:109]
	v_fmac_f64_e32 v[110:111], s[10:11], v[112:113]
	v_add_f64 v[114:115], v[114:115], v[116:117]
	v_fmac_f64_e32 v[106:107], s[8:9], v[112:113]
	v_fmac_f64_e32 v[110:111], s[4:5], v[114:115]
	;; [unrolled: 1-line block ×3, first 2 shown]
	v_add_f64 v[114:115], v[92:93], v[100:101]
	v_fmac_f64_e32 v[136:137], s[4:5], v[104:105]
	v_fmac_f64_e32 v[2:3], s[4:5], v[104:105]
	v_add_f64 v[104:105], v[98:99], v[92:93]
	v_fmac_f64_e32 v[98:99], -0.5, v[114:115]
	v_fma_f64 v[114:115], s[2:3], v[112:113], v[98:99]
	v_fmac_f64_e32 v[98:99], s[12:13], v[112:113]
	v_fmac_f64_e32 v[114:115], s[10:11], v[108:109]
	;; [unrolled: 1-line block ×3, first 2 shown]
	v_add_f64 v[108:109], v[102:103], v[84:85]
	v_add_f64 v[108:109], v[108:109], v[86:87]
	v_add_f64 v[116:117], v[94:95], -v[92:93]
	v_add_f64 v[138:139], v[96:97], -v[100:101]
	v_add_f64 v[108:109], v[108:109], v[88:89]
	v_add_f64 v[104:105], v[104:105], v[94:95]
	;; [unrolled: 1-line block ×6, first 2 shown]
	v_fma_f64 v[108:109], -0.5, v[108:109], v[102:103]
	v_add_f64 v[92:93], v[92:93], -v[100:101]
	v_add_f64 v[104:105], v[104:105], v[100:101]
	v_fma_f64 v[112:113], s[2:3], v[92:93], v[108:109]
	v_add_f64 v[94:95], v[94:95], -v[96:97]
	v_add_f64 v[96:97], v[84:85], -v[86:87]
	;; [unrolled: 1-line block ×3, first 2 shown]
	v_fmac_f64_e32 v[108:109], s[12:13], v[92:93]
	v_fmac_f64_e32 v[112:113], s[8:9], v[94:95]
	v_add_f64 v[96:97], v[96:97], v[100:101]
	v_fmac_f64_e32 v[108:109], s[10:11], v[94:95]
	v_fmac_f64_e32 v[112:113], s[4:5], v[96:97]
	;; [unrolled: 1-line block ×3, first 2 shown]
	v_add_f64 v[96:97], v[84:85], v[90:91]
	v_fmac_f64_e32 v[102:103], -0.5, v[96:97]
	v_fmac_f64_e32 v[114:115], s[4:5], v[116:117]
	v_fmac_f64_e32 v[98:99], s[4:5], v[116:117]
	v_fma_f64 v[116:117], s[12:13], v[94:95], v[102:103]
	v_add_f64 v[84:85], v[86:87], -v[84:85]
	v_add_f64 v[86:87], v[88:89], -v[90:91]
	v_fmac_f64_e32 v[102:103], s[2:3], v[94:95]
	v_add_f64 v[84:85], v[84:85], v[86:87]
	v_fmac_f64_e32 v[102:103], s[10:11], v[92:93]
	v_fmac_f64_e32 v[116:117], s[8:9], v[92:93]
	v_fmac_f64_e32 v[102:103], s[4:5], v[84:85]
	v_fmac_f64_e32 v[116:117], s[4:5], v[84:85]
	v_mul_f64 v[144:145], v[102:103], s[12:13]
	v_mul_f64 v[150:151], v[108:109], s[10:11]
	;; [unrolled: 1-line block ×4, first 2 shown]
	v_fmac_f64_e32 v[144:145], s[20:21], v[98:99]
	v_fmac_f64_e32 v[150:151], s[18:19], v[106:107]
	v_mul_f64 v[152:153], v[112:113], s[22:23]
	v_mul_f64 v[168:169], v[116:117], s[4:5]
	;; [unrolled: 1-line block ×4, first 2 shown]
	v_add_f64 v[92:93], v[122:123], v[104:105]
	v_fmac_f64_e32 v[140:141], s[22:23], v[110:111]
	v_fmac_f64_e32 v[142:143], s[4:5], v[114:115]
	v_add_f64 v[100:101], v[0:1], v[144:145]
	v_add_f64 v[96:97], v[120:121], v[150:151]
	v_fmac_f64_e32 v[152:153], s[8:9], v[110:111]
	v_fmac_f64_e32 v[168:169], s[2:3], v[114:115]
	;; [unrolled: 1-line block ×4, first 2 shown]
	v_add_f64 v[112:113], v[122:123], -v[104:105]
	v_add_f64 v[116:117], v[0:1], -v[144:145]
	v_add_f64 v[0:1], v[120:121], -v[150:151]
	v_accvgpr_read_b32 v123, a47
	v_add_f64 v[88:89], v[124:125], v[140:141]
	v_add_f64 v[84:85], v[134:135], v[142:143]
	;; [unrolled: 1-line block ×7, first 2 shown]
	v_add_f64 v[108:109], v[124:125], -v[140:141]
	v_add_f64 v[104:105], v[134:135], -v[142:143]
	v_add_f64 v[114:115], v[126:127], -v[138:139]
	v_add_f64 v[110:111], v[118:119], -v[152:153]
	v_add_f64 v[106:107], v[136:137], -v[168:169]
	v_add_f64 v[118:119], v[2:3], -v[172:173]
	v_add_f64 v[2:3], v[132:133], -v[174:175]
	v_accvgpr_read_b32 v122, a46
	s_barrier
	ds_write_b128 v170, v[16:19]
	ds_write_b128 v170, v[12:15] offset:1200
	ds_write_b128 v170, v[8:11] offset:2400
	ds_write_b128 v170, v[24:27] offset:3600
	ds_write_b128 v170, v[20:23] offset:4800
	ds_write_b128 v170, v[36:39] offset:6000
	ds_write_b128 v170, v[32:35] offset:7200
	ds_write_b128 v170, v[28:31] offset:8400
	ds_write_b128 v170, v[44:47] offset:9600
	ds_write_b128 v170, v[40:43] offset:10800
	ds_write_b128 v154, v[56:59]
	ds_write_b128 v154, v[52:55] offset:1200
	ds_write_b128 v154, v[48:51] offset:2400
	ds_write_b128 v154, v[64:67] offset:3600
	ds_write_b128 v154, v[60:63] offset:4800
	ds_write_b128 v154, v[76:79] offset:6000
	ds_write_b128 v154, v[72:75] offset:7200
	ds_write_b128 v154, v[68:71] offset:8400
	ds_write_b128 v154, v[80:83] offset:9600
	ds_write_b128 v154, v[4:7] offset:10800
	;; [unrolled: 10-line block ×3, first 2 shown]
	s_waitcnt lgkmcnt(0)
	s_barrier
	ds_read_b128 v[20:23], v210
	ds_read_b128 v[116:119], v210 offset:12000
	ds_read_b128 v[112:115], v210 offset:24000
	;; [unrolled: 1-line block ×29, first 2 shown]
	v_accvgpr_read_b32 v121, a45
	v_accvgpr_read_b32 v120, a44
	s_waitcnt lgkmcnt(14)
	v_mul_f64 v[152:153], v[122:123], v[118:119]
	v_fmac_f64_e32 v[152:153], v[120:121], v[116:117]
	v_mul_f64 v[116:117], v[122:123], v[116:117]
	v_fma_f64 v[218:219], v[120:121], v[118:119], -v[116:117]
	v_accvgpr_read_b32 v119, a39
	v_accvgpr_read_b32 v118, a38
	v_accvgpr_read_b32 v117, a37
	v_accvgpr_read_b32 v116, a36
	v_mul_f64 v[154:155], v[118:119], v[114:115]
	v_fmac_f64_e32 v[154:155], v[116:117], v[112:113]
	v_mul_f64 v[112:113], v[118:119], v[112:113]
	v_fma_f64 v[222:223], v[116:117], v[114:115], -v[112:113]
	v_accvgpr_read_b32 v115, a35
	v_accvgpr_read_b32 v114, a34
	v_accvgpr_read_b32 v113, a33
	v_accvgpr_read_b32 v112, a32
	;; [unrolled: 8-line block ×3, first 2 shown]
	v_mul_f64 v[170:171], v[110:111], v[106:107]
	v_fmac_f64_e32 v[170:171], v[108:109], v[104:105]
	v_mul_f64 v[104:105], v[110:111], v[104:105]
	s_waitcnt lgkmcnt(3)
	v_mul_f64 v[110:111], v[130:131], v[38:39]
	v_fmac_f64_e32 v[110:111], v[128:129], v[36:37]
	v_mul_f64 v[36:37], v[130:131], v[36:37]
	s_waitcnt lgkmcnt(0)
	v_mul_f64 v[130:131], v[162:163], v[26:27]
	v_fmac_f64_e32 v[130:131], v[160:161], v[24:25]
	v_mul_f64 v[24:25], v[162:163], v[24:25]
	v_fma_f64 v[126:127], v[160:161], v[26:27], -v[24:25]
	v_add_f64 v[24:25], v[20:21], v[152:153]
	v_mul_f64 v[116:117], v[192:193], v[42:43]
	v_add_f64 v[24:25], v[24:25], v[154:155]
	v_fmac_f64_e32 v[116:117], v[190:191], v[40:41]
	v_mul_f64 v[40:41], v[192:193], v[40:41]
	v_add_f64 v[24:25], v[24:25], v[168:169]
	v_fma_f64 v[212:213], v[108:109], v[106:107], -v[104:105]
	v_fma_f64 v[112:113], v[190:191], v[42:43], -v[40:41]
	;; [unrolled: 1-line block ×3, first 2 shown]
	v_mul_f64 v[118:119], v[148:149], v[34:35]
	v_mul_f64 v[128:129], v[158:159], v[30:31]
	v_add_f64 v[40:41], v[24:25], v[170:171]
	v_add_f64 v[24:25], v[154:155], v[168:169]
	v_fmac_f64_e32 v[118:119], v[146:147], v[32:33]
	v_mul_f64 v[32:33], v[148:149], v[32:33]
	v_fmac_f64_e32 v[128:129], v[156:157], v[28:29]
	v_mul_f64 v[28:29], v[158:159], v[28:29]
	v_fma_f64 v[24:25], -0.5, v[24:25], v[20:21]
	v_add_f64 v[26:27], v[218:219], -v[212:213]
	v_fma_f64 v[122:123], v[146:147], v[34:35], -v[32:33]
	v_fma_f64 v[124:125], v[156:157], v[30:31], -v[28:29]
	v_fma_f64 v[32:33], s[12:13], v[26:27], v[24:25]
	v_add_f64 v[30:31], v[222:223], -v[220:221]
	v_add_f64 v[28:29], v[152:153], -v[154:155]
	;; [unrolled: 1-line block ×3, first 2 shown]
	v_fmac_f64_e32 v[24:25], s[2:3], v[26:27]
	v_fmac_f64_e32 v[32:33], s[10:11], v[30:31]
	v_add_f64 v[28:29], v[28:29], v[34:35]
	v_fmac_f64_e32 v[24:25], s[8:9], v[30:31]
	v_accvgpr_read_b32 v107, a23
	v_fmac_f64_e32 v[32:33], s[4:5], v[28:29]
	v_fmac_f64_e32 v[24:25], s[4:5], v[28:29]
	v_add_f64 v[28:29], v[152:153], v[170:171]
	v_accvgpr_read_b32 v106, a22
	v_fmac_f64_e32 v[20:21], -0.5, v[28:29]
	v_accvgpr_read_b32 v105, a21
	v_accvgpr_read_b32 v104, a20
	v_mul_f64 v[150:151], v[106:107], v[102:103]
	v_fma_f64 v[28:29], s[2:3], v[30:31], v[20:21]
	v_fmac_f64_e32 v[20:21], s[12:13], v[30:31]
	v_fmac_f64_e32 v[150:151], v[104:105], v[100:101]
	v_mul_f64 v[100:101], v[106:107], v[100:101]
	v_fmac_f64_e32 v[28:29], s[10:11], v[26:27]
	v_fmac_f64_e32 v[20:21], s[8:9], v[26:27]
	v_add_f64 v[26:27], v[22:23], v[218:219]
	v_fma_f64 v[138:139], v[104:105], v[102:103], -v[100:101]
	v_accvgpr_read_b32 v103, a27
	v_add_f64 v[26:27], v[26:27], v[222:223]
	v_accvgpr_read_b32 v102, a26
	v_add_f64 v[26:27], v[26:27], v[220:221]
	v_accvgpr_read_b32 v101, a25
	v_accvgpr_read_b32 v100, a24
	v_mul_f64 v[172:173], v[102:103], v[98:99]
	v_mul_f64 v[114:115], v[188:189], v[46:47]
	v_add_f64 v[34:35], v[154:155], -v[152:153]
	v_add_f64 v[36:37], v[168:169], -v[170:171]
	v_add_f64 v[42:43], v[26:27], v[212:213]
	v_add_f64 v[26:27], v[222:223], v[220:221]
	v_fmac_f64_e32 v[172:173], v[100:101], v[96:97]
	v_mul_f64 v[96:97], v[102:103], v[96:97]
	v_fmac_f64_e32 v[114:115], v[186:187], v[44:45]
	v_mul_f64 v[44:45], v[188:189], v[44:45]
	v_add_f64 v[34:35], v[34:35], v[36:37]
	v_fma_f64 v[26:27], -0.5, v[26:27], v[22:23]
	v_add_f64 v[36:37], v[152:153], -v[170:171]
	v_fma_f64 v[140:141], v[100:101], v[98:99], -v[96:97]
	v_accvgpr_read_b32 v99, a19
	v_fma_f64 v[108:109], v[186:187], v[46:47], -v[44:45]
	v_fmac_f64_e32 v[28:29], s[4:5], v[34:35]
	v_fmac_f64_e32 v[20:21], s[4:5], v[34:35]
	v_fma_f64 v[34:35], s[2:3], v[36:37], v[26:27]
	v_add_f64 v[38:39], v[154:155], -v[168:169]
	v_add_f64 v[30:31], v[218:219], -v[222:223]
	;; [unrolled: 1-line block ×3, first 2 shown]
	v_fmac_f64_e32 v[26:27], s[12:13], v[36:37]
	v_accvgpr_read_b32 v98, a18
	v_fmac_f64_e32 v[34:35], s[8:9], v[38:39]
	v_add_f64 v[30:31], v[30:31], v[44:45]
	v_fmac_f64_e32 v[26:27], s[10:11], v[38:39]
	v_accvgpr_read_b32 v97, a17
	v_accvgpr_read_b32 v96, a16
	v_mul_f64 v[174:175], v[98:99], v[94:95]
	v_fmac_f64_e32 v[34:35], s[4:5], v[30:31]
	v_fmac_f64_e32 v[26:27], s[4:5], v[30:31]
	v_add_f64 v[30:31], v[218:219], v[212:213]
	v_fmac_f64_e32 v[174:175], v[96:97], v[92:93]
	v_mul_f64 v[92:93], v[98:99], v[92:93]
	v_fmac_f64_e32 v[22:23], -0.5, v[30:31]
	v_fma_f64 v[142:143], v[96:97], v[94:95], -v[92:93]
	v_accvgpr_read_b32 v95, a15
	v_fma_f64 v[30:31], s[12:13], v[38:39], v[22:23]
	v_fmac_f64_e32 v[22:23], s[2:3], v[38:39]
	v_accvgpr_read_b32 v94, a14
	v_fmac_f64_e32 v[30:31], s[8:9], v[36:37]
	v_fmac_f64_e32 v[22:23], s[10:11], v[36:37]
	v_add_f64 v[36:37], v[16:17], v[150:151]
	v_accvgpr_read_b32 v93, a13
	v_accvgpr_read_b32 v92, a12
	v_mul_f64 v[214:215], v[94:95], v[90:91]
	v_add_f64 v[44:45], v[222:223], -v[218:219]
	v_add_f64 v[46:47], v[220:221], -v[212:213]
	v_add_f64 v[36:37], v[36:37], v[172:173]
	v_fmac_f64_e32 v[214:215], v[92:93], v[88:89]
	v_mul_f64 v[88:89], v[94:95], v[88:89]
	v_add_f64 v[44:45], v[44:45], v[46:47]
	v_add_f64 v[36:37], v[36:37], v[174:175]
	v_fma_f64 v[144:145], v[92:93], v[90:91], -v[88:89]
	v_mul_f64 v[94:95], v[166:167], v[54:55]
	v_mul_f64 v[102:103], v[184:185], v[50:51]
	v_fmac_f64_e32 v[30:31], s[4:5], v[44:45]
	v_fmac_f64_e32 v[22:23], s[4:5], v[44:45]
	v_add_f64 v[44:45], v[36:37], v[214:215]
	v_add_f64 v[36:37], v[172:173], v[174:175]
	v_fmac_f64_e32 v[94:95], v[164:165], v[52:53]
	v_mul_f64 v[52:53], v[166:167], v[52:53]
	v_fmac_f64_e32 v[102:103], v[182:183], v[48:49]
	v_mul_f64 v[48:49], v[184:185], v[48:49]
	v_fma_f64 v[36:37], -0.5, v[36:37], v[16:17]
	v_add_f64 v[38:39], v[138:139], -v[144:145]
	v_fma_f64 v[104:105], v[164:165], v[54:55], -v[52:53]
	v_fma_f64 v[106:107], v[182:183], v[50:51], -v[48:49]
	v_fma_f64 v[48:49], s[12:13], v[38:39], v[36:37]
	v_add_f64 v[46:47], v[140:141], -v[142:143]
	v_add_f64 v[50:51], v[150:151], -v[172:173]
	v_add_f64 v[52:53], v[214:215], -v[174:175]
	v_fmac_f64_e32 v[36:37], s[2:3], v[38:39]
	v_fmac_f64_e32 v[48:49], s[10:11], v[46:47]
	v_add_f64 v[50:51], v[50:51], v[52:53]
	v_fmac_f64_e32 v[36:37], s[8:9], v[46:47]
	v_accvgpr_read_b32 v91, a11
	v_fmac_f64_e32 v[48:49], s[4:5], v[50:51]
	v_fmac_f64_e32 v[36:37], s[4:5], v[50:51]
	v_add_f64 v[50:51], v[150:151], v[214:215]
	v_accvgpr_read_b32 v90, a10
	v_fmac_f64_e32 v[16:17], -0.5, v[50:51]
	v_accvgpr_read_b32 v89, a9
	v_accvgpr_read_b32 v88, a8
	v_mul_f64 v[132:133], v[90:91], v[86:87]
	v_fma_f64 v[52:53], s[2:3], v[46:47], v[16:17]
	v_fmac_f64_e32 v[16:17], s[12:13], v[46:47]
	v_fmac_f64_e32 v[132:133], v[88:89], v[84:85]
	v_mul_f64 v[84:85], v[90:91], v[84:85]
	v_fmac_f64_e32 v[52:53], s[10:11], v[38:39]
	v_fmac_f64_e32 v[16:17], s[8:9], v[38:39]
	v_add_f64 v[38:39], v[18:19], v[138:139]
	v_fma_f64 v[84:85], v[88:89], v[86:87], -v[84:85]
	v_accvgpr_read_b32 v89, a43
	v_add_f64 v[38:39], v[38:39], v[140:141]
	v_accvgpr_read_b32 v88, a42
	v_mul_f64 v[100:101], v[208:209], v[58:59]
	v_add_f64 v[38:39], v[38:39], v[142:143]
	v_accvgpr_read_b32 v87, a41
	v_accvgpr_read_b32 v86, a40
	v_mul_f64 v[134:135], v[88:89], v[82:83]
	v_mul_f64 v[98:99], v[204:205], v[62:63]
	v_fmac_f64_e32 v[100:101], v[206:207], v[56:57]
	v_mul_f64 v[56:57], v[208:209], v[56:57]
	v_add_f64 v[50:51], v[172:173], -v[150:151]
	v_add_f64 v[54:55], v[174:175], -v[214:215]
	v_add_f64 v[46:47], v[38:39], v[144:145]
	v_add_f64 v[38:39], v[140:141], v[142:143]
	v_fmac_f64_e32 v[134:135], v[86:87], v[80:81]
	v_mul_f64 v[80:81], v[88:89], v[80:81]
	v_fmac_f64_e32 v[98:99], v[202:203], v[60:61]
	v_mul_f64 v[60:61], v[204:205], v[60:61]
	v_fma_f64 v[96:97], v[206:207], v[58:59], -v[56:57]
	v_add_f64 v[50:51], v[50:51], v[54:55]
	v_fma_f64 v[38:39], -0.5, v[38:39], v[18:19]
	v_add_f64 v[56:57], v[150:151], -v[214:215]
	v_fma_f64 v[80:81], v[86:87], v[82:83], -v[80:81]
	v_accvgpr_read_b32 v89, a7
	v_fma_f64 v[92:93], v[202:203], v[62:63], -v[60:61]
	v_fmac_f64_e32 v[52:53], s[4:5], v[50:51]
	v_fmac_f64_e32 v[16:17], s[4:5], v[50:51]
	v_fma_f64 v[50:51], s[2:3], v[56:57], v[38:39]
	v_add_f64 v[58:59], v[172:173], -v[174:175]
	v_add_f64 v[54:55], v[138:139], -v[140:141]
	;; [unrolled: 1-line block ×3, first 2 shown]
	v_fmac_f64_e32 v[38:39], s[12:13], v[56:57]
	v_accvgpr_read_b32 v88, a6
	v_fmac_f64_e32 v[50:51], s[8:9], v[58:59]
	v_add_f64 v[54:55], v[54:55], v[60:61]
	v_fmac_f64_e32 v[38:39], s[10:11], v[58:59]
	v_accvgpr_read_b32 v87, a5
	v_accvgpr_read_b32 v86, a4
	v_mul_f64 v[82:83], v[88:89], v[78:79]
	v_fmac_f64_e32 v[50:51], s[4:5], v[54:55]
	v_fmac_f64_e32 v[38:39], s[4:5], v[54:55]
	v_add_f64 v[54:55], v[138:139], v[144:145]
	v_fmac_f64_e32 v[82:83], v[86:87], v[76:77]
	v_mul_f64 v[76:77], v[88:89], v[76:77]
	v_fmac_f64_e32 v[18:19], -0.5, v[54:55]
	v_fma_f64 v[76:77], v[86:87], v[78:79], -v[76:77]
	v_accvgpr_read_b32 v89, a3
	v_fma_f64 v[54:55], s[12:13], v[58:59], v[18:19]
	v_fmac_f64_e32 v[18:19], s[2:3], v[58:59]
	v_accvgpr_read_b32 v88, a2
	v_fmac_f64_e32 v[54:55], s[8:9], v[56:57]
	v_fmac_f64_e32 v[18:19], s[10:11], v[56:57]
	v_add_f64 v[56:57], v[12:13], v[132:133]
	v_accvgpr_read_b32 v87, a1
	v_accvgpr_read_b32 v86, a0
	v_mul_f64 v[136:137], v[88:89], v[74:75]
	v_add_f64 v[60:61], v[140:141], -v[138:139]
	v_add_f64 v[62:63], v[142:143], -v[144:145]
	v_add_f64 v[56:57], v[56:57], v[134:135]
	v_fmac_f64_e32 v[136:137], v[86:87], v[72:73]
	v_mul_f64 v[72:73], v[88:89], v[72:73]
	v_add_f64 v[60:61], v[60:61], v[62:63]
	v_add_f64 v[56:57], v[56:57], v[82:83]
	v_fma_f64 v[72:73], v[86:87], v[74:75], -v[72:73]
	v_mul_f64 v[78:79], v[196:197], v[70:71]
	v_mul_f64 v[86:87], v[200:201], v[66:67]
	v_fmac_f64_e32 v[54:55], s[4:5], v[60:61]
	v_fmac_f64_e32 v[18:19], s[4:5], v[60:61]
	v_add_f64 v[60:61], v[56:57], v[136:137]
	v_add_f64 v[56:57], v[134:135], v[82:83]
	v_fmac_f64_e32 v[78:79], v[194:195], v[68:69]
	v_mul_f64 v[68:69], v[196:197], v[68:69]
	v_fmac_f64_e32 v[86:87], v[198:199], v[64:65]
	v_mul_f64 v[64:65], v[200:201], v[64:65]
	v_fma_f64 v[56:57], -0.5, v[56:57], v[12:13]
	v_add_f64 v[58:59], v[84:85], -v[72:73]
	v_fma_f64 v[88:89], v[194:195], v[70:71], -v[68:69]
	v_fma_f64 v[90:91], v[198:199], v[66:67], -v[64:65]
	v_fma_f64 v[64:65], s[12:13], v[58:59], v[56:57]
	v_add_f64 v[62:63], v[80:81], -v[76:77]
	v_add_f64 v[66:67], v[132:133], -v[134:135]
	v_add_f64 v[68:69], v[136:137], -v[82:83]
	v_fmac_f64_e32 v[56:57], s[2:3], v[58:59]
	v_fmac_f64_e32 v[64:65], s[10:11], v[62:63]
	v_add_f64 v[66:67], v[66:67], v[68:69]
	v_fmac_f64_e32 v[56:57], s[8:9], v[62:63]
	v_fmac_f64_e32 v[64:65], s[4:5], v[66:67]
	v_fmac_f64_e32 v[56:57], s[4:5], v[66:67]
	v_add_f64 v[66:67], v[132:133], v[136:137]
	v_fmac_f64_e32 v[12:13], -0.5, v[66:67]
	v_fma_f64 v[68:69], s[2:3], v[62:63], v[12:13]
	v_fmac_f64_e32 v[12:13], s[12:13], v[62:63]
	v_fmac_f64_e32 v[68:69], s[10:11], v[58:59]
	v_fmac_f64_e32 v[12:13], s[8:9], v[58:59]
	v_add_f64 v[58:59], v[14:15], v[84:85]
	v_add_f64 v[58:59], v[58:59], v[80:81]
	v_add_f64 v[58:59], v[58:59], v[76:77]
	v_add_f64 v[66:67], v[134:135], -v[132:133]
	v_add_f64 v[70:71], v[82:83], -v[136:137]
	v_add_f64 v[62:63], v[58:59], v[72:73]
	v_add_f64 v[58:59], v[80:81], v[76:77]
	v_add_f64 v[66:67], v[66:67], v[70:71]
	v_fma_f64 v[58:59], -0.5, v[58:59], v[14:15]
	v_add_f64 v[74:75], v[132:133], -v[136:137]
	v_fmac_f64_e32 v[68:69], s[4:5], v[66:67]
	v_fmac_f64_e32 v[12:13], s[4:5], v[66:67]
	v_fma_f64 v[66:67], s[2:3], v[74:75], v[58:59]
	v_add_f64 v[82:83], v[134:135], -v[82:83]
	v_add_f64 v[70:71], v[84:85], -v[80:81]
	v_add_f64 v[132:133], v[72:73], -v[76:77]
	v_fmac_f64_e32 v[58:59], s[12:13], v[74:75]
	v_fmac_f64_e32 v[66:67], s[8:9], v[82:83]
	v_add_f64 v[70:71], v[70:71], v[132:133]
	v_fmac_f64_e32 v[58:59], s[10:11], v[82:83]
	v_fmac_f64_e32 v[66:67], s[4:5], v[70:71]
	v_fmac_f64_e32 v[58:59], s[4:5], v[70:71]
	v_add_f64 v[70:71], v[84:85], v[72:73]
	v_fmac_f64_e32 v[14:15], -0.5, v[70:71]
	v_fma_f64 v[70:71], s[12:13], v[82:83], v[14:15]
	v_add_f64 v[80:81], v[80:81], -v[84:85]
	v_add_f64 v[72:73], v[76:77], -v[72:73]
	v_fmac_f64_e32 v[14:15], s[2:3], v[82:83]
	v_fmac_f64_e32 v[70:71], s[8:9], v[74:75]
	v_add_f64 v[72:73], v[80:81], v[72:73]
	v_fmac_f64_e32 v[14:15], s[10:11], v[74:75]
	v_fmac_f64_e32 v[70:71], s[4:5], v[72:73]
	v_fmac_f64_e32 v[14:15], s[4:5], v[72:73]
	v_add_f64 v[72:73], v[8:9], v[78:79]
	v_add_f64 v[72:73], v[72:73], v[86:87]
	v_add_f64 v[72:73], v[72:73], v[98:99]
	v_add_f64 v[80:81], v[72:73], v[100:101]
	v_add_f64 v[72:73], v[86:87], v[98:99]
	v_fma_f64 v[72:73], -0.5, v[72:73], v[8:9]
	v_add_f64 v[74:75], v[88:89], -v[96:97]
	v_fma_f64 v[76:77], s[12:13], v[74:75], v[72:73]
	v_add_f64 v[82:83], v[90:91], -v[92:93]
	v_add_f64 v[84:85], v[78:79], -v[86:87]
	v_add_f64 v[132:133], v[100:101], -v[98:99]
	v_fmac_f64_e32 v[72:73], s[2:3], v[74:75]
	v_fmac_f64_e32 v[76:77], s[10:11], v[82:83]
	v_add_f64 v[84:85], v[84:85], v[132:133]
	v_fmac_f64_e32 v[72:73], s[8:9], v[82:83]
	v_fmac_f64_e32 v[76:77], s[4:5], v[84:85]
	v_fmac_f64_e32 v[72:73], s[4:5], v[84:85]
	v_add_f64 v[84:85], v[78:79], v[100:101]
	v_fmac_f64_e32 v[8:9], -0.5, v[84:85]
	v_fma_f64 v[84:85], s[2:3], v[82:83], v[8:9]
	v_fmac_f64_e32 v[8:9], s[12:13], v[82:83]
	v_fmac_f64_e32 v[84:85], s[10:11], v[74:75]
	v_fmac_f64_e32 v[8:9], s[8:9], v[74:75]
	v_add_f64 v[74:75], v[10:11], v[88:89]
	v_add_f64 v[74:75], v[74:75], v[90:91]
	v_add_f64 v[74:75], v[74:75], v[92:93]
	v_add_f64 v[132:133], v[86:87], -v[78:79]
	v_add_f64 v[134:135], v[98:99], -v[100:101]
	v_add_f64 v[82:83], v[74:75], v[96:97]
	v_add_f64 v[74:75], v[90:91], v[92:93]
	v_add_f64 v[132:133], v[132:133], v[134:135]
	v_fma_f64 v[74:75], -0.5, v[74:75], v[10:11]
	v_add_f64 v[100:101], v[78:79], -v[100:101]
	v_fmac_f64_e32 v[84:85], s[4:5], v[132:133]
	v_fmac_f64_e32 v[8:9], s[4:5], v[132:133]
	v_fma_f64 v[78:79], s[2:3], v[100:101], v[74:75]
	v_add_f64 v[98:99], v[86:87], -v[98:99]
	v_add_f64 v[86:87], v[88:89], -v[90:91]
	v_add_f64 v[132:133], v[96:97], -v[92:93]
	v_fmac_f64_e32 v[74:75], s[12:13], v[100:101]
	v_fmac_f64_e32 v[78:79], s[8:9], v[98:99]
	v_add_f64 v[86:87], v[86:87], v[132:133]
	v_fmac_f64_e32 v[74:75], s[10:11], v[98:99]
	v_fmac_f64_e32 v[78:79], s[4:5], v[86:87]
	v_fmac_f64_e32 v[74:75], s[4:5], v[86:87]
	v_add_f64 v[86:87], v[88:89], v[96:97]
	v_fmac_f64_e32 v[10:11], -0.5, v[86:87]
	v_fma_f64 v[86:87], s[12:13], v[98:99], v[10:11]
	v_add_f64 v[88:89], v[90:91], -v[88:89]
	v_add_f64 v[90:91], v[92:93], -v[96:97]
	v_fmac_f64_e32 v[10:11], s[2:3], v[98:99]
	v_fmac_f64_e32 v[86:87], s[8:9], v[100:101]
	v_add_f64 v[88:89], v[88:89], v[90:91]
	v_fmac_f64_e32 v[10:11], s[10:11], v[100:101]
	v_fmac_f64_e32 v[86:87], s[4:5], v[88:89]
	v_fmac_f64_e32 v[10:11], s[4:5], v[88:89]
	v_add_f64 v[88:89], v[4:5], v[94:95]
	v_add_f64 v[88:89], v[88:89], v[102:103]
	v_add_f64 v[88:89], v[88:89], v[114:115]
	v_add_f64 v[96:97], v[88:89], v[116:117]
	v_add_f64 v[88:89], v[102:103], v[114:115]
	v_fma_f64 v[88:89], -0.5, v[88:89], v[4:5]
	v_add_f64 v[90:91], v[104:105], -v[112:113]
	;; [unrolled: 56-line block ×3, first 2 shown]
	v_fma_f64 v[108:109], s[12:13], v[106:107], v[104:105]
	v_add_f64 v[114:115], v[122:123], -v[124:125]
	v_add_f64 v[116:117], v[110:111], -v[118:119]
	;; [unrolled: 1-line block ×3, first 2 shown]
	v_fmac_f64_e32 v[104:105], s[2:3], v[106:107]
	v_fmac_f64_e32 v[108:109], s[10:11], v[114:115]
	v_add_f64 v[116:117], v[116:117], v[132:133]
	v_fmac_f64_e32 v[104:105], s[8:9], v[114:115]
	v_fmac_f64_e32 v[108:109], s[4:5], v[116:117]
	;; [unrolled: 1-line block ×3, first 2 shown]
	v_add_f64 v[116:117], v[110:111], v[130:131]
	v_fmac_f64_e32 v[0:1], -0.5, v[116:117]
	v_fma_f64 v[116:117], s[2:3], v[114:115], v[0:1]
	v_fmac_f64_e32 v[0:1], s[12:13], v[114:115]
	v_fmac_f64_e32 v[116:117], s[10:11], v[106:107]
	;; [unrolled: 1-line block ×3, first 2 shown]
	v_add_f64 v[106:107], v[2:3], v[120:121]
	v_add_f64 v[106:107], v[106:107], v[122:123]
	;; [unrolled: 1-line block ×3, first 2 shown]
	v_add_f64 v[132:133], v[118:119], -v[110:111]
	v_add_f64 v[134:135], v[128:129], -v[130:131]
	v_add_f64 v[114:115], v[106:107], v[126:127]
	v_add_f64 v[106:107], v[122:123], v[124:125]
	;; [unrolled: 1-line block ×3, first 2 shown]
	v_fma_f64 v[106:107], -0.5, v[106:107], v[2:3]
	v_add_f64 v[130:131], v[110:111], -v[130:131]
	v_fmac_f64_e32 v[116:117], s[4:5], v[132:133]
	v_fmac_f64_e32 v[0:1], s[4:5], v[132:133]
	v_fma_f64 v[110:111], s[2:3], v[130:131], v[106:107]
	v_add_f64 v[128:129], v[118:119], -v[128:129]
	v_add_f64 v[118:119], v[120:121], -v[122:123]
	;; [unrolled: 1-line block ×3, first 2 shown]
	v_fmac_f64_e32 v[106:107], s[12:13], v[130:131]
	v_fmac_f64_e32 v[110:111], s[8:9], v[128:129]
	v_add_f64 v[118:119], v[118:119], v[132:133]
	v_fmac_f64_e32 v[106:107], s[10:11], v[128:129]
	v_fmac_f64_e32 v[110:111], s[4:5], v[118:119]
	;; [unrolled: 1-line block ×3, first 2 shown]
	v_add_f64 v[118:119], v[120:121], v[126:127]
	v_fmac_f64_e32 v[2:3], -0.5, v[118:119]
	v_fma_f64 v[118:119], s[12:13], v[128:129], v[2:3]
	v_add_f64 v[120:121], v[122:123], -v[120:121]
	v_add_f64 v[122:123], v[124:125], -v[126:127]
	v_fmac_f64_e32 v[2:3], s[2:3], v[128:129]
	v_fmac_f64_e32 v[118:119], s[8:9], v[130:131]
	v_add_f64 v[120:121], v[120:121], v[122:123]
	v_fmac_f64_e32 v[2:3], s[10:11], v[130:131]
	v_fmac_f64_e32 v[118:119], s[4:5], v[120:121]
	;; [unrolled: 1-line block ×3, first 2 shown]
	ds_write_b128 v210, v[40:43]
	ds_write_b128 v210, v[32:35] offset:12000
	ds_write_b128 v210, v[28:31] offset:24000
	ds_write_b128 v210, v[20:23] offset:36000
	ds_write_b128 v210, v[24:27] offset:48000
	ds_write_b128 v210, v[44:47] offset:2000
	ds_write_b128 v210, v[48:51] offset:14000
	ds_write_b128 v210, v[52:55] offset:26000
	ds_write_b128 v210, v[16:19] offset:38000
	ds_write_b128 v210, v[36:39] offset:50000
	ds_write_b128 v210, v[60:63] offset:4000
	ds_write_b128 v210, v[64:67] offset:16000
	ds_write_b128 v210, v[68:71] offset:28000
	ds_write_b128 v210, v[12:15] offset:40000
	ds_write_b128 v210, v[56:59] offset:52000
	ds_write_b128 v210, v[80:83] offset:6000
	ds_write_b128 v210, v[76:79] offset:18000
	ds_write_b128 v210, v[84:87] offset:30000
	ds_write_b128 v210, v[8:11] offset:42000
	ds_write_b128 v210, v[72:75] offset:54000
	ds_write_b128 v210, v[96:99] offset:8000
	ds_write_b128 v210, v[92:95] offset:20000
	ds_write_b128 v210, v[100:103] offset:32000
	ds_write_b128 v210, v[4:7] offset:44000
	ds_write_b128 v210, v[88:91] offset:56000
	ds_write_b128 v210, v[112:115] offset:10000
	ds_write_b128 v210, v[108:111] offset:22000
	ds_write_b128 v210, v[116:119] offset:34000
	ds_write_b128 v210, v[0:3] offset:46000
	ds_write_b128 v210, v[104:107] offset:58000
	s_waitcnt lgkmcnt(0)
	s_barrier
	scratch_load_dwordx4 v[6:9], off, off offset:24 ; 16-byte Folded Reload
	scratch_load_dwordx4 v[10:13], off, off offset:40 ; 16-byte Folded Reload
	ds_read_b128 v[0:3], v210
	s_mov_b32 s2, 0x9cbd821e
	s_mov_b32 s3, 0x3f3179ec
	s_waitcnt vmcnt(1) lgkmcnt(0)
	v_mul_f64 v[4:5], v[8:9], v[2:3]
	v_fmac_f64_e32 v[4:5], v[6:7], v[0:1]
	v_mul_f64 v[0:1], v[8:9], v[0:1]
	scratch_load_dwordx2 v[8:9], off, off offset:16 ; 8-byte Folded Reload
	v_fma_f64 v[0:1], v[6:7], v[2:3], -v[0:1]
	v_mul_f64 v[6:7], v[0:1], s[2:3]
	v_mad_u64_u32 v[0:1], s[4:5], s0, v176, 0
	v_mov_b32_e32 v2, v1
	v_mad_u64_u32 v[2:3], s[4:5], s1, v176, v[2:3]
	v_mov_b32_e32 v1, v2
	v_accvgpr_read_b32 v3, a58              ;  Reload Reuse
	v_accvgpr_read_b32 v2, a59              ;  Reload Reuse
	v_mul_f64 v[4:5], v[4:5], s[2:3]
	s_waitcnt vmcnt(0)
	v_lshl_add_u64 v[2:3], v[8:9], 4, v[2:3]
	v_lshl_add_u64 v[8:9], v[0:1], 4, v[2:3]
	ds_read_b128 v[0:3], v210 offset:20000
	global_store_dwordx4 v[8:9], v[4:7], off
	v_mad_u64_u32 v[8:9], s[4:5], s0, v180, v[8:9]
	s_mul_i32 s4, s1, 0x4e20
	s_waitcnt lgkmcnt(0)
	v_mul_f64 v[4:5], v[12:13], v[2:3]
	v_fmac_f64_e32 v[4:5], v[10:11], v[0:1]
	v_mul_f64 v[0:1], v[12:13], v[0:1]
	v_fma_f64 v[0:1], v[10:11], v[2:3], -v[0:1]
	scratch_load_dwordx4 v[10:13], off, off offset:56 ; 16-byte Folded Reload
	v_mul_f64 v[6:7], v[0:1], s[2:3]
	ds_read_b128 v[0:3], v210 offset:40000
	v_mul_f64 v[4:5], v[4:5], s[2:3]
	v_add_u32_e32 v9, s4, v9
	global_store_dwordx4 v[8:9], v[4:7], off
	v_mad_u64_u32 v[8:9], s[6:7], s0, v180, v[8:9]
	v_add_u32_e32 v9, s4, v9
	s_mul_i32 s1, s1, 0xffff6b90
	s_sub_i32 s1, s1, s0
	s_waitcnt vmcnt(1) lgkmcnt(0)
	v_mul_f64 v[4:5], v[12:13], v[2:3]
	v_fmac_f64_e32 v[4:5], v[10:11], v[0:1]
	v_mul_f64 v[0:1], v[12:13], v[0:1]
	v_fma_f64 v[0:1], v[10:11], v[2:3], -v[0:1]
	scratch_load_dwordx4 v[10:13], off, off offset:72 ; 16-byte Folded Reload
	v_mul_f64 v[6:7], v[0:1], s[2:3]
	ds_read_b128 v[0:3], v210 offset:2000
	v_mul_f64 v[4:5], v[4:5], s[2:3]
	global_store_dwordx4 v[8:9], v[4:7], off
	s_waitcnt vmcnt(1) lgkmcnt(0)
	s_nop 0
	v_mul_f64 v[4:5], v[12:13], v[2:3]
	v_fmac_f64_e32 v[4:5], v[10:11], v[0:1]
	v_mul_f64 v[0:1], v[12:13], v[0:1]
	scratch_load_dwordx4 v[12:15], off, off offset:88 ; 16-byte Folded Reload
	v_fma_f64 v[0:1], v[10:11], v[2:3], -v[0:1]
	v_mul_f64 v[6:7], v[0:1], s[2:3]
	ds_read_b128 v[0:3], v210 offset:22000
	v_mov_b32_e32 v10, 0xffff6b90
	v_mad_u64_u32 v[8:9], s[6:7], s0, v10, v[8:9]
	v_mul_f64 v[4:5], v[4:5], s[2:3]
	v_add_u32_e32 v9, s1, v9
	global_store_dwordx4 v[8:9], v[4:7], off
	v_mad_u64_u32 v[8:9], s[6:7], s0, v180, v[8:9]
	v_add_u32_e32 v9, s4, v9
	s_waitcnt vmcnt(1) lgkmcnt(0)
	v_mul_f64 v[4:5], v[14:15], v[2:3]
	v_fmac_f64_e32 v[4:5], v[12:13], v[0:1]
	v_mul_f64 v[0:1], v[14:15], v[0:1]
	v_fma_f64 v[0:1], v[12:13], v[2:3], -v[0:1]
	scratch_load_dwordx4 v[12:15], off, off offset:104 ; 16-byte Folded Reload
	v_mul_f64 v[6:7], v[0:1], s[2:3]
	ds_read_b128 v[0:3], v210 offset:42000
	v_mul_f64 v[4:5], v[4:5], s[2:3]
	global_store_dwordx4 v[8:9], v[4:7], off
	v_mad_u64_u32 v[8:9], s[6:7], s0, v180, v[8:9]
	v_add_u32_e32 v9, s4, v9
	s_waitcnt vmcnt(1) lgkmcnt(0)
	v_mul_f64 v[4:5], v[14:15], v[2:3]
	v_fmac_f64_e32 v[4:5], v[12:13], v[0:1]
	v_mul_f64 v[0:1], v[14:15], v[0:1]
	v_fma_f64 v[0:1], v[12:13], v[2:3], -v[0:1]
	scratch_load_dwordx4 v[12:15], off, off offset:120 ; 16-byte Folded Reload
	v_mul_f64 v[6:7], v[0:1], s[2:3]
	ds_read_b128 v[0:3], v210 offset:4000
	v_mul_f64 v[4:5], v[4:5], s[2:3]
	global_store_dwordx4 v[8:9], v[4:7], off
	v_mad_u64_u32 v[8:9], s[6:7], s0, v10, v[8:9]
	v_add_u32_e32 v9, s1, v9
	v_mov_b32_e32 v10, 0xffff6b90
	s_waitcnt vmcnt(1) lgkmcnt(0)
	v_mul_f64 v[4:5], v[14:15], v[2:3]
	v_fmac_f64_e32 v[4:5], v[12:13], v[0:1]
	v_mul_f64 v[0:1], v[14:15], v[0:1]
	v_fma_f64 v[0:1], v[12:13], v[2:3], -v[0:1]
	scratch_load_dwordx4 v[12:15], off, off offset:136 ; 16-byte Folded Reload
	v_mul_f64 v[6:7], v[0:1], s[2:3]
	ds_read_b128 v[0:3], v210 offset:24000
	v_mul_f64 v[4:5], v[4:5], s[2:3]
	global_store_dwordx4 v[8:9], v[4:7], off
	v_mad_u64_u32 v[8:9], s[6:7], s0, v180, v[8:9]
	v_add_u32_e32 v9, s4, v9
	s_waitcnt vmcnt(1) lgkmcnt(0)
	v_mul_f64 v[4:5], v[14:15], v[2:3]
	v_fmac_f64_e32 v[4:5], v[12:13], v[0:1]
	v_mul_f64 v[0:1], v[14:15], v[0:1]
	v_fma_f64 v[0:1], v[12:13], v[2:3], -v[0:1]
	scratch_load_dwordx4 v[12:15], off, off offset:168 ; 16-byte Folded Reload
	v_mul_f64 v[6:7], v[0:1], s[2:3]
	ds_read_b128 v[0:3], v210 offset:44000
	v_mul_f64 v[4:5], v[4:5], s[2:3]
	global_store_dwordx4 v[8:9], v[4:7], off
	v_mad_u64_u32 v[8:9], s[6:7], s0, v180, v[8:9]
	v_add_u32_e32 v9, s4, v9
	;; [unrolled: 12-line block ×20, first 2 shown]
	v_mad_u64_u32 v[10:11], s[6:7], s0, v10, v[8:9]
	v_add_u32_e32 v11, s1, v11
	s_waitcnt vmcnt(1) lgkmcnt(0)
	v_mul_f64 v[4:5], v[14:15], v[2:3]
	v_fmac_f64_e32 v[4:5], v[12:13], v[0:1]
	v_mul_f64 v[0:1], v[14:15], v[0:1]
	v_fma_f64 v[0:1], v[12:13], v[2:3], -v[0:1]
	scratch_load_dwordx4 v[12:15], off, off offset:480 ; 16-byte Folded Reload
	v_mul_f64 v[6:7], v[0:1], s[2:3]
	ds_read_b128 v[0:3], v210 offset:18000
	v_mul_f64 v[4:5], v[4:5], s[2:3]
	global_store_dwordx4 v[8:9], v[4:7], off
	s_waitcnt vmcnt(1) lgkmcnt(0)
	s_nop 0
	v_mul_f64 v[4:5], v[14:15], v[2:3]
	v_fmac_f64_e32 v[4:5], v[12:13], v[0:1]
	v_mul_f64 v[0:1], v[14:15], v[0:1]
	v_fma_f64 v[0:1], v[12:13], v[2:3], -v[0:1]
	scratch_load_dwordx4 v[12:15], off, off offset:496 ; 16-byte Folded Reload
	v_mul_f64 v[6:7], v[0:1], s[2:3]
	ds_read_b128 v[0:3], v210 offset:38000
	v_mul_f64 v[4:5], v[4:5], s[2:3]
	global_store_dwordx4 v[10:11], v[4:7], off
	s_waitcnt vmcnt(1) lgkmcnt(0)
	s_nop 0
	v_mul_f64 v[4:5], v[14:15], v[2:3]
	v_fmac_f64_e32 v[4:5], v[12:13], v[0:1]
	v_mul_f64 v[0:1], v[14:15], v[0:1]
	v_mul_f64 v[6:7], v[4:5], s[2:3]
	v_fma_f64 v[0:1], v[12:13], v[2:3], -v[0:1]
	v_mad_u64_u32 v[4:5], s[6:7], s0, v180, v[10:11]
	v_mul_f64 v[8:9], v[0:1], s[2:3]
	v_add_u32_e32 v5, s4, v5
	global_store_dwordx4 v[4:5], v[6:9], off
	scratch_load_dwordx4 v[8:11], off, off offset:152 ; 16-byte Folded Reload
	ds_read_b128 v[0:3], v210 offset:58000
	s_waitcnt vmcnt(0) lgkmcnt(0)
	v_mul_f64 v[6:7], v[10:11], v[2:3]
	v_fmac_f64_e32 v[6:7], v[8:9], v[0:1]
	v_mul_f64 v[0:1], v[10:11], v[0:1]
	v_fma_f64 v[0:1], v[8:9], v[2:3], -v[0:1]
	v_mul_f64 v[8:9], v[0:1], s[2:3]
	v_mad_u64_u32 v[0:1], s[0:1], s0, v180, v[4:5]
	v_mul_f64 v[6:7], v[6:7], s[2:3]
	v_add_u32_e32 v1, s4, v1
	global_store_dwordx4 v[0:1], v[6:9], off
.LBB0_2:
	s_endpgm
	.section	.rodata,"a",@progbits
	.p2align	6, 0x0
	.amdhsa_kernel bluestein_single_back_len3750_dim1_dp_op_CI_CI
		.amdhsa_group_segment_fixed_size 60000
		.amdhsa_private_segment_fixed_size 820
		.amdhsa_kernarg_size 104
		.amdhsa_user_sgpr_count 2
		.amdhsa_user_sgpr_dispatch_ptr 0
		.amdhsa_user_sgpr_queue_ptr 0
		.amdhsa_user_sgpr_kernarg_segment_ptr 1
		.amdhsa_user_sgpr_dispatch_id 0
		.amdhsa_user_sgpr_kernarg_preload_length 0
		.amdhsa_user_sgpr_kernarg_preload_offset 0
		.amdhsa_user_sgpr_private_segment_size 0
		.amdhsa_uses_dynamic_stack 0
		.amdhsa_enable_private_segment 1
		.amdhsa_system_sgpr_workgroup_id_x 1
		.amdhsa_system_sgpr_workgroup_id_y 0
		.amdhsa_system_sgpr_workgroup_id_z 0
		.amdhsa_system_sgpr_workgroup_info 0
		.amdhsa_system_vgpr_workitem_id 0
		.amdhsa_next_free_vgpr 512
		.amdhsa_next_free_sgpr 27
		.amdhsa_accum_offset 256
		.amdhsa_reserve_vcc 1
		.amdhsa_float_round_mode_32 0
		.amdhsa_float_round_mode_16_64 0
		.amdhsa_float_denorm_mode_32 3
		.amdhsa_float_denorm_mode_16_64 3
		.amdhsa_dx10_clamp 1
		.amdhsa_ieee_mode 1
		.amdhsa_fp16_overflow 0
		.amdhsa_tg_split 0
		.amdhsa_exception_fp_ieee_invalid_op 0
		.amdhsa_exception_fp_denorm_src 0
		.amdhsa_exception_fp_ieee_div_zero 0
		.amdhsa_exception_fp_ieee_overflow 0
		.amdhsa_exception_fp_ieee_underflow 0
		.amdhsa_exception_fp_ieee_inexact 0
		.amdhsa_exception_int_div_zero 0
	.end_amdhsa_kernel
	.text
.Lfunc_end0:
	.size	bluestein_single_back_len3750_dim1_dp_op_CI_CI, .Lfunc_end0-bluestein_single_back_len3750_dim1_dp_op_CI_CI
                                        ; -- End function
	.section	.AMDGPU.csdata,"",@progbits
; Kernel info:
; codeLenInByte = 45952
; NumSgprs: 33
; NumVgprs: 256
; NumAgprs: 256
; TotalNumVgprs: 512
; ScratchSize: 820
; MemoryBound: 0
; FloatMode: 240
; IeeeMode: 1
; LDSByteSize: 60000 bytes/workgroup (compile time only)
; SGPRBlocks: 4
; VGPRBlocks: 63
; NumSGPRsForWavesPerEU: 33
; NumVGPRsForWavesPerEU: 512
; AccumOffset: 256
; Occupancy: 1
; WaveLimiterHint : 1
; COMPUTE_PGM_RSRC2:SCRATCH_EN: 1
; COMPUTE_PGM_RSRC2:USER_SGPR: 2
; COMPUTE_PGM_RSRC2:TRAP_HANDLER: 0
; COMPUTE_PGM_RSRC2:TGID_X_EN: 1
; COMPUTE_PGM_RSRC2:TGID_Y_EN: 0
; COMPUTE_PGM_RSRC2:TGID_Z_EN: 0
; COMPUTE_PGM_RSRC2:TIDIG_COMP_CNT: 0
; COMPUTE_PGM_RSRC3_GFX90A:ACCUM_OFFSET: 63
; COMPUTE_PGM_RSRC3_GFX90A:TG_SPLIT: 0
	.text
	.p2alignl 6, 3212836864
	.fill 256, 4, 3212836864
	.type	__hip_cuid_310cc4b3c105468f,@object ; @__hip_cuid_310cc4b3c105468f
	.section	.bss,"aw",@nobits
	.globl	__hip_cuid_310cc4b3c105468f
__hip_cuid_310cc4b3c105468f:
	.byte	0                               ; 0x0
	.size	__hip_cuid_310cc4b3c105468f, 1

	.ident	"AMD clang version 19.0.0git (https://github.com/RadeonOpenCompute/llvm-project roc-6.4.0 25133 c7fe45cf4b819c5991fe208aaa96edf142730f1d)"
	.section	".note.GNU-stack","",@progbits
	.addrsig
	.addrsig_sym __hip_cuid_310cc4b3c105468f
	.amdgpu_metadata
---
amdhsa.kernels:
  - .agpr_count:     256
    .args:
      - .actual_access:  read_only
        .address_space:  global
        .offset:         0
        .size:           8
        .value_kind:     global_buffer
      - .actual_access:  read_only
        .address_space:  global
        .offset:         8
        .size:           8
        .value_kind:     global_buffer
      - .actual_access:  read_only
        .address_space:  global
        .offset:         16
        .size:           8
        .value_kind:     global_buffer
      - .actual_access:  read_only
        .address_space:  global
        .offset:         24
        .size:           8
        .value_kind:     global_buffer
      - .actual_access:  read_only
        .address_space:  global
        .offset:         32
        .size:           8
        .value_kind:     global_buffer
      - .offset:         40
        .size:           8
        .value_kind:     by_value
      - .address_space:  global
        .offset:         48
        .size:           8
        .value_kind:     global_buffer
      - .address_space:  global
        .offset:         56
        .size:           8
        .value_kind:     global_buffer
      - .address_space:  global
        .offset:         64
        .size:           8
        .value_kind:     global_buffer
      - .address_space:  global
        .offset:         72
        .size:           8
        .value_kind:     global_buffer
      - .offset:         80
        .size:           4
        .value_kind:     by_value
      - .address_space:  global
        .offset:         88
        .size:           8
        .value_kind:     global_buffer
      - .address_space:  global
        .offset:         96
        .size:           8
        .value_kind:     global_buffer
    .group_segment_fixed_size: 60000
    .kernarg_segment_align: 8
    .kernarg_segment_size: 104
    .language:       OpenCL C
    .language_version:
      - 2
      - 0
    .max_flat_workgroup_size: 125
    .name:           bluestein_single_back_len3750_dim1_dp_op_CI_CI
    .private_segment_fixed_size: 820
    .sgpr_count:     33
    .sgpr_spill_count: 0
    .symbol:         bluestein_single_back_len3750_dim1_dp_op_CI_CI.kd
    .uniform_work_group_size: 1
    .uses_dynamic_stack: false
    .vgpr_count:     512
    .vgpr_spill_count: 206
    .wavefront_size: 64
amdhsa.target:   amdgcn-amd-amdhsa--gfx950
amdhsa.version:
  - 1
  - 2
...

	.end_amdgpu_metadata
